;; amdgpu-corpus repo=ROCm/rocFFT kind=compiled arch=gfx906 opt=O3
	.text
	.amdgcn_target "amdgcn-amd-amdhsa--gfx906"
	.amdhsa_code_object_version 6
	.protected	bluestein_single_back_len1134_dim1_half_op_CI_CI ; -- Begin function bluestein_single_back_len1134_dim1_half_op_CI_CI
	.globl	bluestein_single_back_len1134_dim1_half_op_CI_CI
	.p2align	8
	.type	bluestein_single_back_len1134_dim1_half_op_CI_CI,@function
bluestein_single_back_len1134_dim1_half_op_CI_CI: ; @bluestein_single_back_len1134_dim1_half_op_CI_CI
; %bb.0:
	s_load_dwordx4 s[12:15], s[4:5], 0x28
	v_mul_u32_u24_e32 v1, 0x209, v0
	v_add_u32_sdwa v10, s6, v1 dst_sel:DWORD dst_unused:UNUSED_PAD src0_sel:DWORD src1_sel:WORD_1
	v_mov_b32_e32 v11, 0
	s_waitcnt lgkmcnt(0)
	v_cmp_gt_u64_e32 vcc, s[12:13], v[10:11]
	s_and_saveexec_b64 s[0:1], vcc
	s_cbranch_execz .LBB0_23
; %bb.1:
	s_load_dwordx4 s[0:3], s[4:5], 0x18
	s_load_dwordx2 s[12:13], s[4:5], 0x0
	s_waitcnt lgkmcnt(0)
	v_mov_b32_e32 v9, s13
	s_load_dwordx4 s[8:11], s[0:1], 0x0
	s_movk_i32 s0, 0x7e
	v_mul_lo_u16_sdwa v1, v1, s0 dst_sel:DWORD dst_unused:UNUSED_PAD src0_sel:WORD_1 src1_sel:DWORD
	v_sub_u16_e32 v55, v0, v1
	v_lshlrev_b32_e32 v48, 2, v55
	s_waitcnt lgkmcnt(0)
	v_mad_u64_u32 v[0:1], s[0:1], s10, v10, 0
	v_mad_u64_u32 v[2:3], s[0:1], s8, v55, 0
	global_load_dword v57, v48, s[12:13]
	v_mad_u64_u32 v[4:5], s[0:1], s11, v10, v[1:2]
	v_mad_u64_u32 v[5:6], s[0:1], s9, v55, v[3:4]
	v_mov_b32_e32 v1, v4
	v_lshlrev_b64 v[0:1], 2, v[0:1]
	v_mov_b32_e32 v6, s15
	v_mov_b32_e32 v3, v5
	v_add_co_u32_e32 v4, vcc, s14, v0
	v_addc_co_u32_e32 v5, vcc, v6, v1, vcc
	v_lshlrev_b64 v[0:1], 2, v[2:3]
	s_mul_i32 s0, s9, 0x237
	s_mul_hi_u32 s1, s8, 0x237
	s_add_i32 s1, s1, s0
	s_mul_i32 s0, s8, 0x237
	v_add_co_u32_e32 v0, vcc, v4, v0
	s_lshl_b64 s[14:15], s[0:1], 2
	s_mul_hi_u32 s1, s8, 0xfffffe47
	v_addc_co_u32_e32 v1, vcc, v5, v1, vcc
	s_mul_i32 s0, s9, 0xfffffe47
	s_sub_i32 s1, s1, s8
	v_mov_b32_e32 v4, s15
	v_add_co_u32_e32 v2, vcc, s14, v0
	s_add_i32 s1, s1, s0
	s_mul_i32 s0, s8, 0xfffffe47
	v_addc_co_u32_e32 v3, vcc, v1, v4, vcc
	s_lshl_b64 s[16:17], s[0:1], 2
	global_load_dword v5, v[0:1], off
	global_load_dword v6, v[2:3], off
	global_load_dword v56, v48, s[12:13] offset:2268
	v_mov_b32_e32 v7, s17
	v_add_co_u32_e32 v0, vcc, s16, v2
	v_addc_co_u32_e32 v1, vcc, v3, v7, vcc
	global_load_dword v2, v[0:1], off
	global_load_dword v54, v48, s[12:13] offset:504
	v_add_co_u32_e32 v0, vcc, s14, v0
	v_addc_co_u32_e32 v1, vcc, v1, v4, vcc
	global_load_dword v3, v[0:1], off
	global_load_dword v53, v48, s[12:13] offset:2772
	v_add_co_u32_e32 v0, vcc, s16, v0
	v_addc_co_u32_e32 v1, vcc, v1, v7, vcc
	global_load_dword v11, v[0:1], off
	global_load_dword v52, v48, s[12:13] offset:1008
	v_add_co_u32_e32 v0, vcc, s14, v0
	v_addc_co_u32_e32 v1, vcc, v1, v4, vcc
	global_load_dword v12, v[0:1], off
	global_load_dword v51, v48, s[12:13] offset:3276
	v_add_co_u32_e32 v0, vcc, s16, v0
	v_addc_co_u32_e32 v1, vcc, v1, v7, vcc
	global_load_dword v7, v[0:1], off
	global_load_dword v49, v48, s[12:13] offset:3780
	global_load_dword v50, v48, s[12:13] offset:1512
	v_add_co_u32_e32 v0, vcc, s14, v0
	v_addc_co_u32_e32 v1, vcc, v1, v4, vcc
	global_load_dword v4, v[0:1], off
	s_load_dwordx2 s[6:7], s[4:5], 0x38
	s_load_dwordx4 s[8:11], s[2:3], 0x0
	v_add_co_u32_e64 v8, s[2:3], s12, v48
	v_addc_co_u32_e64 v9, vcc, 0, v9, s[2:3]
	v_cmp_gt_u16_e64 s[0:1], 63, v55
	s_waitcnt vmcnt(14)
	v_lshrrev_b32_e32 v13, 16, v5
	v_mul_f16_sdwa v14, v57, v5 dst_sel:DWORD dst_unused:UNUSED_PAD src0_sel:WORD_1 src1_sel:DWORD
	v_mul_f16_sdwa v15, v57, v13 dst_sel:DWORD dst_unused:UNUSED_PAD src0_sel:WORD_1 src1_sel:DWORD
	v_fma_f16 v13, v57, v13, -v14
	s_waitcnt vmcnt(13)
	v_lshrrev_b32_e32 v14, 16, v6
	s_waitcnt vmcnt(12)
	v_mul_f16_sdwa v16, v56, v6 dst_sel:DWORD dst_unused:UNUSED_PAD src0_sel:WORD_1 src1_sel:DWORD
	v_fma_f16 v5, v57, v5, v15
	v_mul_f16_sdwa v15, v56, v14 dst_sel:DWORD dst_unused:UNUSED_PAD src0_sel:WORD_1 src1_sel:DWORD
	v_fma_f16 v14, v56, v14, -v16
	s_waitcnt vmcnt(11)
	v_lshrrev_b32_e32 v16, 16, v2
	v_pack_b32_f16 v5, v5, v13
	s_waitcnt vmcnt(10)
	v_mul_f16_sdwa v13, v54, v16 dst_sel:DWORD dst_unused:UNUSED_PAD src0_sel:WORD_1 src1_sel:DWORD
	v_fma_f16 v13, v54, v2, v13
	v_mul_f16_sdwa v2, v54, v2 dst_sel:DWORD dst_unused:UNUSED_PAD src0_sel:WORD_1 src1_sel:DWORD
	v_fma_f16 v6, v56, v6, v15
	v_fma_f16 v2, v54, v16, -v2
	v_pack_b32_f16 v6, v6, v14
	v_pack_b32_f16 v2, v13, v2
	ds_write_b32 v48, v6 offset:2268
	ds_write2_b32 v48, v5, v2 offset1:126
	s_waitcnt vmcnt(9)
	v_lshrrev_b32_e32 v2, 16, v3
	s_waitcnt vmcnt(8)
	v_mul_f16_sdwa v5, v53, v2 dst_sel:DWORD dst_unused:UNUSED_PAD src0_sel:WORD_1 src1_sel:DWORD
	v_fma_f16 v5, v53, v3, v5
	v_mul_f16_sdwa v3, v53, v3 dst_sel:DWORD dst_unused:UNUSED_PAD src0_sel:WORD_1 src1_sel:DWORD
	v_fma_f16 v2, v53, v2, -v3
	s_waitcnt vmcnt(7)
	v_lshrrev_b32_e32 v3, 16, v11
	v_pack_b32_f16 v2, v5, v2
	s_waitcnt vmcnt(6)
	v_mul_f16_sdwa v5, v52, v3 dst_sel:DWORD dst_unused:UNUSED_PAD src0_sel:WORD_1 src1_sel:DWORD
	v_mul_f16_sdwa v6, v52, v11 dst_sel:DWORD dst_unused:UNUSED_PAD src0_sel:WORD_1 src1_sel:DWORD
	v_fma_f16 v5, v52, v11, v5
	v_fma_f16 v3, v52, v3, -v6
	v_pack_b32_f16 v3, v5, v3
	s_waitcnt vmcnt(5)
	v_lshrrev_b32_e32 v5, 16, v12
	s_waitcnt vmcnt(4)
	v_mul_f16_sdwa v6, v51, v5 dst_sel:DWORD dst_unused:UNUSED_PAD src0_sel:WORD_1 src1_sel:DWORD
	v_mul_f16_sdwa v11, v51, v12 dst_sel:DWORD dst_unused:UNUSED_PAD src0_sel:WORD_1 src1_sel:DWORD
	v_fma_f16 v6, v51, v12, v6
	v_fma_f16 v5, v51, v5, -v11
	v_pack_b32_f16 v5, v6, v5
	v_add_u32_e32 v6, 0xa00, v48
	ds_write2_b32 v6, v2, v5 offset0:53 offset1:179
	s_waitcnt vmcnt(3)
	v_lshrrev_b32_e32 v2, 16, v7
	s_waitcnt vmcnt(1)
	v_mul_f16_sdwa v5, v50, v2 dst_sel:DWORD dst_unused:UNUSED_PAD src0_sel:WORD_1 src1_sel:DWORD
	v_mul_f16_sdwa v6, v50, v7 dst_sel:DWORD dst_unused:UNUSED_PAD src0_sel:WORD_1 src1_sel:DWORD
	v_fma_f16 v5, v50, v7, v5
	v_fma_f16 v2, v50, v2, -v6
	v_pack_b32_f16 v2, v5, v2
	v_add_u32_e32 v6, 0x200, v48
	ds_write2_b32 v6, v3, v2 offset0:124 offset1:250
	s_waitcnt vmcnt(0)
	v_lshrrev_b32_e32 v2, 16, v4
	v_mul_f16_sdwa v3, v49, v2 dst_sel:DWORD dst_unused:UNUSED_PAD src0_sel:WORD_1 src1_sel:DWORD
	v_fma_f16 v3, v49, v4, v3
	v_mul_f16_sdwa v4, v49, v4 dst_sel:DWORD dst_unused:UNUSED_PAD src0_sel:WORD_1 src1_sel:DWORD
	v_fma_f16 v2, v49, v2, -v4
	v_pack_b32_f16 v2, v3, v2
	ds_write_b32 v48, v2 offset:3780
	s_and_saveexec_b64 s[18:19], s[0:1]
	s_cbranch_execz .LBB0_3
; %bb.2:
	v_mov_b32_e32 v2, s17
	v_add_co_u32_e32 v0, vcc, s16, v0
	v_addc_co_u32_e32 v1, vcc, v1, v2, vcc
	global_load_dword v2, v[0:1], off
	global_load_dword v3, v[8:9], off offset:2016
	v_mov_b32_e32 v4, s15
	v_add_co_u32_e32 v0, vcc, s14, v0
	v_addc_co_u32_e32 v1, vcc, v1, v4, vcc
	global_load_dword v4, v[0:1], off
	v_add_co_u32_e32 v0, vcc, 0x1000, v8
	v_addc_co_u32_e32 v1, vcc, 0, v9, vcc
	global_load_dword v0, v[0:1], off offset:188
	s_waitcnt vmcnt(3)
	v_lshrrev_b32_e32 v1, 16, v2
	s_waitcnt vmcnt(2)
	v_mul_f16_sdwa v5, v3, v2 dst_sel:DWORD dst_unused:UNUSED_PAD src0_sel:WORD_1 src1_sel:DWORD
	v_mul_f16_sdwa v7, v3, v1 dst_sel:DWORD dst_unused:UNUSED_PAD src0_sel:WORD_1 src1_sel:DWORD
	v_fma_f16 v1, v3, v1, -v5
	v_fma_f16 v2, v3, v2, v7
	v_pack_b32_f16 v1, v2, v1
	ds_write_b32 v48, v1 offset:2016
	s_waitcnt vmcnt(1)
	v_lshrrev_b32_e32 v5, 16, v4
	s_waitcnt vmcnt(0)
	v_mul_f16_sdwa v11, v0, v4 dst_sel:DWORD dst_unused:UNUSED_PAD src0_sel:WORD_1 src1_sel:DWORD
	v_mul_f16_sdwa v3, v0, v5 dst_sel:DWORD dst_unused:UNUSED_PAD src0_sel:WORD_1 src1_sel:DWORD
	v_fma_f16 v5, v0, v5, -v11
	v_fma_f16 v0, v0, v4, v3
	v_pack_b32_f16 v0, v0, v5
	ds_write_b32 v48, v0 offset:4284
.LBB0_3:
	s_or_b64 exec, exec, s[18:19]
	v_add_u32_e32 v0, 0x800, v48
	s_waitcnt lgkmcnt(0)
	s_barrier
	ds_read2_b32 v[2:3], v48 offset1:126
	ds_read2_b32 v[4:5], v0 offset0:55 offset1:181
	ds_read2_b32 v[0:1], v6 offset0:124 offset1:250
	v_add_u32_e32 v6, 0xc00, v48
	s_load_dwordx2 s[14:15], s[4:5], 0x8
	ds_read2_b32 v[6:7], v6 offset0:51 offset1:177
                                        ; implicit-def: $vgpr11
                                        ; implicit-def: $vgpr12
	s_and_saveexec_b64 s[4:5], s[0:1]
	s_cbranch_execz .LBB0_5
; %bb.4:
	ds_read_b32 v11, v48 offset:2016
	ds_read_b32 v12, v48 offset:4284
.LBB0_5:
	s_or_b64 exec, exec, s[4:5]
	v_add_co_u32_e32 v27, vcc, 0x7e, v55
	s_waitcnt lgkmcnt(0)
	v_pk_add_f16 v13, v2, v4 neg_lo:[0,1] neg_hi:[0,1]
	v_pk_add_f16 v4, v3, v5 neg_lo:[0,1] neg_hi:[0,1]
	;; [unrolled: 1-line block ×4, first 2 shown]
	v_lshlrev_b16_e32 v7, 1, v55
	v_add_co_u32_e32 v25, vcc, 0xfc, v55
	v_pk_add_f16 v33, v11, v12 neg_lo:[0,1] neg_hi:[0,1]
	v_lshlrev_b32_e32 v59, 2, v7
	v_pk_fma_f16 v12, v2, 2.0, v13 op_sel_hi:[1,0,1] neg_lo:[0,0,1] neg_hi:[0,0,1]
	v_lshlrev_b32_e32 v60, 3, v27
	v_pk_fma_f16 v3, v3, 2.0, v4 op_sel_hi:[1,0,1] neg_lo:[0,0,1] neg_hi:[0,0,1]
	v_add_co_u32_e32 v14, vcc, 0x1f8, v55
	s_barrier
	ds_write_b64 v59, v[12:13]
	ds_write_b64 v60, v[3:4]
	v_lshlrev_b32_e32 v61, 3, v25
	v_pk_fma_f16 v4, v0, 2.0, v5 op_sel_hi:[1,0,1] neg_lo:[0,0,1] neg_hi:[0,0,1]
	v_lshlrev_b32_e32 v62, 3, v55
	ds_write_b64 v61, v[4:5]
	v_pk_fma_f16 v5, v1, 2.0, v6 op_sel_hi:[1,0,1] neg_lo:[0,0,1] neg_hi:[0,0,1]
	v_lshlrev_b32_e32 v58, 3, v14
	ds_write_b64 v62, v[5:6] offset:3024
	s_and_saveexec_b64 s[4:5], s[0:1]
	s_cbranch_execz .LBB0_7
; %bb.6:
	v_pk_fma_f16 v32, v11, 2.0, v33 op_sel_hi:[1,0,1] neg_lo:[0,0,1] neg_hi:[0,0,1]
	ds_write_b64 v58, v[32:33]
.LBB0_7:
	s_or_b64 exec, exec, s[4:5]
	v_and_b32_e32 v15, 1, v55
	v_lshlrev_b32_e32 v0, 3, v15
	s_waitcnt lgkmcnt(0)
	s_barrier
	global_load_dwordx2 v[11:12], v0, s[14:15]
	v_add_u32_e32 v1, 0x200, v48
	ds_read2_b32 v[2:3], v48 offset1:126
	v_add_u32_e32 v71, 0xa00, v48
	v_add_u32_e32 v0, 0x600, v48
	ds_read_b32 v16, v48 offset:4032
	ds_read2_b32 v[4:5], v1 offset0:124 offset1:250
	ds_read2_b32 v[6:7], v71 offset0:116 offset1:242
	;; [unrolled: 1-line block ×3, first 2 shown]
	s_waitcnt lgkmcnt(4)
	v_lshrrev_b32_e32 v18, 16, v3
	s_movk_i32 s4, 0x3aee
	s_waitcnt lgkmcnt(2)
	v_lshrrev_b32_e32 v20, 16, v5
	v_lshrrev_b32_e32 v19, 16, v16
	s_waitcnt lgkmcnt(0)
	v_lshrrev_b32_e32 v24, 16, v14
	v_lshrrev_b32_e32 v21, 16, v6
	;; [unrolled: 1-line block ×5, first 2 shown]
	s_mov_b32 s5, 0xbaee
	v_lshrrev_b32_e32 v17, 16, v2
	s_waitcnt vmcnt(0)
	s_barrier
	s_movk_i32 s12, 0xab
	v_add_u32_e32 v80, 0x400, v48
                                        ; implicit-def: $vgpr82
                                        ; implicit-def: $vgpr81
                                        ; implicit-def: $vgpr79
                                        ; implicit-def: $vgpr83
                                        ; implicit-def: $vgpr84
	v_mul_f16_sdwa v36, v14, v11 dst_sel:DWORD dst_unused:UNUSED_PAD src0_sel:DWORD src1_sel:WORD_1
	v_mul_f16_sdwa v40, v16, v12 dst_sel:DWORD dst_unused:UNUSED_PAD src0_sel:DWORD src1_sel:WORD_1
	;; [unrolled: 1-line block ×6, first 2 shown]
	v_fma_f16 v24, v24, v11, v36
	v_fma_f16 v19, v19, v12, v40
	v_mul_f16_sdwa v28, v21, v12 dst_sel:DWORD dst_unused:UNUSED_PAD src0_sel:DWORD src1_sel:WORD_1
	v_mul_f16_sdwa v29, v6, v12 dst_sel:DWORD dst_unused:UNUSED_PAD src0_sel:DWORD src1_sel:WORD_1
	;; [unrolled: 1-line block ×6, first 2 shown]
	v_fma_f16 v14, v14, v11, -v35
	v_fma_f16 v22, v22, v11, v31
	v_fma_f16 v23, v23, v12, v34
	v_fma_f16 v16, v16, v12, -v39
	v_sub_f16_e32 v39, v24, v19
	v_add_f16_e32 v40, v26, v24
	v_add_f16_e32 v24, v24, v19
	v_fma_f16 v6, v6, v12, -v28
	v_fma_f16 v7, v7, v12, -v32
	v_fma_f16 v21, v21, v12, v29
	v_fma_f16 v20, v20, v11, v37
	v_fma_f16 v5, v5, v11, -v38
	v_add_f16_e32 v32, v14, v16
	v_add_f16_e32 v34, v4, v14
	v_sub_f16_e32 v37, v22, v23
	v_add_f16_e32 v38, v18, v22
	v_add_f16_e32 v22, v22, v23
	v_fma_f16 v24, v24, -0.5, v26
	v_sub_f16_e32 v14, v14, v16
	v_add_f16_e32 v29, v5, v6
	v_sub_f16_e32 v35, v20, v21
	v_add_f16_e32 v36, v17, v20
	v_add_f16_e32 v20, v20, v21
	v_fma_f16 v18, v22, -0.5, v18
	v_add_f16_e32 v22, v34, v16
	v_fma_f16 v16, v14, s5, v24
	v_fma_f16 v14, v14, s4, v24
	v_lshrrev_b32_e32 v24, 1, v55
	v_add_f16_e32 v28, v2, v5
	v_sub_f16_e32 v5, v5, v6
	v_fma_f16 v2, v29, -0.5, v2
	v_fma_f16 v17, v20, -0.5, v17
	v_mul_u32_u24_e32 v24, 6, v24
	v_add_f16_e32 v6, v28, v6
	v_add_f16_e32 v20, v38, v23
	v_fma_f16 v23, v35, s4, v2
	v_fma_f16 v2, v35, s5, v2
	;; [unrolled: 1-line block ×4, first 2 shown]
	v_or_b32_e32 v24, v24, v15
	v_fma_f16 v13, v13, v11, -v30
	v_lshlrev_b32_e32 v63, 2, v24
	v_pack_b32_f16 v2, v2, v5
	v_add_f16_e32 v30, v13, v7
	ds_write_b32 v63, v2 offset:16
	v_lshrrev_b32_e32 v2, 1, v27
	v_add_f16_e32 v31, v3, v13
	v_sub_f16_e32 v13, v13, v7
	v_fma_f16 v3, v30, -0.5, v3
	v_mul_u32_u24_e32 v2, 6, v2
	v_add_f16_e32 v21, v36, v21
	v_add_f16_e32 v7, v31, v7
	v_fma_f16 v17, v37, s4, v3
	v_fma_f16 v29, v13, s5, v18
	v_or_b32_e32 v2, v2, v15
	v_fma_f16 v3, v37, s5, v3
	v_fma_f16 v13, v13, s4, v18
	v_pack_b32_f16 v6, v6, v21
	v_pack_b32_f16 v21, v23, v28
	v_lshlrev_b32_e32 v64, 2, v2
	v_pack_b32_f16 v2, v7, v20
	v_pack_b32_f16 v5, v17, v29
	ds_write2_b32 v63, v6, v21 offset1:2
	ds_write2_b32 v64, v2, v5 offset1:2
	v_pack_b32_f16 v2, v3, v13
	ds_write_b32 v64, v2 offset:16
	v_lshrrev_b32_e32 v2, 1, v25
	v_fma_f16 v4, v32, -0.5, v4
	v_mul_u32_u24_e32 v2, 6, v2
	v_add_f16_e32 v19, v40, v19
	v_fma_f16 v18, v39, s4, v4
	v_or_b32_e32 v2, v2, v15
	v_fma_f16 v4, v39, s5, v4
	v_lshlrev_b32_e32 v65, 2, v2
	v_pack_b32_f16 v2, v22, v19
	v_pack_b32_f16 v3, v18, v16
	ds_write2_b32 v65, v2, v3 offset1:2
	v_pack_b32_f16 v2, v4, v14
	ds_write_b32 v65, v2 offset:16
	v_mul_lo_u16_sdwa v2, v55, s12 dst_sel:DWORD dst_unused:UNUSED_PAD src0_sel:BYTE_0 src1_sel:DWORD
	v_lshrrev_b16_e32 v19, 10, v2
	v_mul_lo_u16_e32 v2, 6, v19
	v_sub_u16_e32 v2, v55, v2
	v_and_b32_e32 v20, 0xff, v2
	v_lshlrev_b32_e32 v2, 3, v20
	s_waitcnt lgkmcnt(0)
	s_barrier
	global_load_dwordx2 v[13:14], v2, s[14:15] offset:16
	v_mul_lo_u16_sdwa v2, v27, s12 dst_sel:DWORD dst_unused:UNUSED_PAD src0_sel:BYTE_0 src1_sel:DWORD
	v_lshrrev_b16_e32 v21, 10, v2
	v_mul_lo_u16_e32 v2, 6, v21
	v_sub_u16_e32 v2, v27, v2
	v_and_b32_e32 v22, 0xff, v2
	v_lshlrev_b32_e32 v2, 3, v22
	global_load_dwordx2 v[15:16], v2, s[14:15] offset:16
	s_mov_b32 s12, 0xaaab
	v_mul_u32_u24_sdwa v2, v25, s12 dst_sel:DWORD dst_unused:UNUSED_PAD src0_sel:WORD_0 src1_sel:DWORD
	v_lshrrev_b32_e32 v23, 18, v2
	v_mul_lo_u16_e32 v2, 6, v23
	v_sub_u16_e32 v24, v25, v2
	v_lshlrev_b16_e32 v2, 3, v24
	v_mov_b32_e32 v26, s15
	v_add_co_u32_e32 v2, vcc, s14, v2
	v_addc_co_u32_e32 v3, vcc, 0, v26, vcc
	global_load_dwordx2 v[17:18], v[2:3], off offset:16
	ds_read2_b32 v[2:3], v1 offset0:124 offset1:250
	ds_read2_b32 v[4:5], v71 offset0:116 offset1:242
	ds_read2_b32 v[6:7], v48 offset1:126
	s_mov_b32 s12, 0xe38f
	s_waitcnt lgkmcnt(2)
	v_lshrrev_b32_e32 v28, 16, v3
	s_waitcnt lgkmcnt(1)
	v_lshrrev_b32_e32 v29, 16, v4
	;; [unrolled: 2-line block ×3, first 2 shown]
	s_waitcnt vmcnt(2)
	v_mul_f16_sdwa v31, v3, v13 dst_sel:DWORD dst_unused:UNUSED_PAD src0_sel:DWORD src1_sel:WORD_1
	v_mul_f16_sdwa v32, v4, v14 dst_sel:DWORD dst_unused:UNUSED_PAD src0_sel:DWORD src1_sel:WORD_1
	;; [unrolled: 1-line block ×4, first 2 shown]
	v_fma_f16 v28, v28, v13, v31
	v_fma_f16 v29, v29, v14, v32
	v_fma_f16 v3, v3, v13, -v34
	v_fma_f16 v4, v4, v14, -v35
	v_add_f16_e32 v32, v30, v28
	v_sub_f16_e32 v31, v28, v29
	v_add_f16_e32 v28, v28, v29
	v_add_f16_e32 v34, v6, v3
	;; [unrolled: 1-line block ×4, first 2 shown]
	v_fma_f16 v28, v28, -0.5, v30
	v_add_f16_e32 v30, v34, v4
	v_sub_f16_e32 v34, v3, v4
	v_mul_u32_u24_e32 v3, 18, v19
	v_fma_f16 v6, v32, -0.5, v6
	v_add_lshl_u32 v66, v3, v20, 2
	v_fma_f16 v3, v31, s4, v6
	v_fma_f16 v4, v34, s5, v28
	v_pack_b32_f16 v19, v30, v29
	v_pack_b32_f16 v20, v3, v4
	ds_read_b32 v29, v48 offset:4032
	ds_read2_b32 v[3:4], v0 offset0:120 offset1:246
	s_waitcnt vmcnt(0) lgkmcnt(0)
	s_barrier
	ds_write2_b32 v66, v19, v20 offset1:6
	v_lshrrev_b32_e32 v19, 16, v5
	v_mul_f16_sdwa v20, v19, v16 dst_sel:DWORD dst_unused:UNUSED_PAD src0_sel:DWORD src1_sel:WORD_1
	v_fma_f16 v20, v5, v16, -v20
	v_mul_f16_sdwa v5, v5, v16 dst_sel:DWORD dst_unused:UNUSED_PAD src0_sel:DWORD src1_sel:WORD_1
	v_fma_f16 v5, v19, v16, v5
	v_fma_f16 v19, v34, s4, v28
	v_lshrrev_b32_e32 v28, 16, v3
	v_mul_f16_sdwa v30, v3, v15 dst_sel:DWORD dst_unused:UNUSED_PAD src0_sel:DWORD src1_sel:WORD_1
	v_fma_f16 v30, v28, v15, v30
	v_mul_f16_sdwa v28, v28, v15 dst_sel:DWORD dst_unused:UNUSED_PAD src0_sel:DWORD src1_sel:WORD_1
	v_fma_f16 v6, v31, s5, v6
	v_fma_f16 v3, v3, v15, -v28
	v_lshrrev_b32_e32 v31, 16, v7
	v_add_f16_e32 v28, v3, v20
	v_add_f16_e32 v32, v31, v30
	v_fma_f16 v28, v28, -0.5, v7
	v_add_f16_e32 v7, v7, v3
	v_add_f16_e32 v32, v32, v5
	v_sub_f16_e32 v34, v30, v5
	v_add_f16_e32 v5, v30, v5
	v_pack_b32_f16 v6, v6, v19
	v_fma_f16 v5, v5, -0.5, v31
	v_add_f16_e32 v7, v7, v20
	v_sub_f16_e32 v3, v3, v20
	ds_write_b32 v66, v6 offset:48
	v_mul_u32_u24_e32 v6, 18, v21
	v_add_lshl_u32 v67, v6, v22, 2
	v_pack_b32_f16 v6, v7, v32
	v_fma_f16 v7, v34, s4, v28
	v_fma_f16 v19, v3, s5, v5
	v_pack_b32_f16 v7, v7, v19
	ds_write2_b32 v67, v6, v7 offset1:6
	v_lshrrev_b32_e32 v6, 16, v4
	v_mul_f16_sdwa v7, v6, v17 dst_sel:DWORD dst_unused:UNUSED_PAD src0_sel:DWORD src1_sel:WORD_1
	v_fma_f16 v7, v4, v17, -v7
	v_mul_f16_sdwa v4, v4, v17 dst_sel:DWORD dst_unused:UNUSED_PAD src0_sel:DWORD src1_sel:WORD_1
	v_fma_f16 v4, v6, v17, v4
	v_lshrrev_b32_e32 v6, 16, v29
	v_mul_f16_sdwa v19, v6, v18 dst_sel:DWORD dst_unused:UNUSED_PAD src0_sel:DWORD src1_sel:WORD_1
	v_fma_f16 v19, v29, v18, -v19
	v_mul_f16_sdwa v20, v29, v18 dst_sel:DWORD dst_unused:UNUSED_PAD src0_sel:DWORD src1_sel:WORD_1
	v_fma_f16 v6, v6, v18, v20
	v_fma_f16 v3, v3, s4, v5
	v_add_f16_e32 v5, v7, v19
	v_fma_f16 v5, v5, -0.5, v2
	v_lshrrev_b32_e32 v21, 16, v2
	v_sub_f16_e32 v22, v4, v6
	v_fma_f16 v20, v34, s5, v28
	v_fma_f16 v28, v22, s4, v5
	;; [unrolled: 1-line block ×3, first 2 shown]
	v_add_f16_e32 v22, v21, v4
	v_add_f16_e32 v4, v4, v6
	;; [unrolled: 1-line block ×4, first 2 shown]
	v_fma_f16 v4, v4, -0.5, v21
	v_sub_f16_e32 v6, v7, v19
	v_pack_b32_f16 v3, v20, v3
	v_add_f16_e32 v2, v2, v19
	v_fma_f16 v7, v6, s5, v4
	ds_write_b32 v67, v3 offset:48
	v_mad_legacy_u16 v3, v23, 18, v24
	v_fma_f16 v4, v6, s4, v4
	v_lshlrev_b32_e32 v68, 2, v3
	v_pack_b32_f16 v2, v2, v22
	v_pack_b32_f16 v3, v28, v7
	ds_write2_b32 v68, v2, v3 offset1:6
	v_pack_b32_f16 v2, v5, v4
	ds_write_b32 v68, v2 offset:48
	v_mov_b32_e32 v2, 57
	v_mul_lo_u16_sdwa v3, v55, v2 dst_sel:DWORD dst_unused:UNUSED_PAD src0_sel:BYTE_0 src1_sel:DWORD
	v_lshrrev_b16_e32 v28, 10, v3
	v_mul_lo_u16_e32 v3, 18, v28
	v_sub_u16_e32 v3, v55, v3
	v_and_b32_e32 v29, 0xff, v3
	v_lshlrev_b32_e32 v3, 3, v29
	s_waitcnt lgkmcnt(0)
	s_barrier
	global_load_dwordx2 v[19:20], v3, s[14:15] offset:64
	v_mul_lo_u16_sdwa v2, v27, v2 dst_sel:DWORD dst_unused:UNUSED_PAD src0_sel:BYTE_0 src1_sel:DWORD
	v_lshrrev_b16_e32 v30, 10, v2
	v_mul_lo_u16_e32 v2, 18, v30
	v_sub_u16_e32 v2, v27, v2
	v_and_b32_e32 v31, 0xff, v2
	v_lshlrev_b32_e32 v2, 3, v31
	global_load_dwordx2 v[21:22], v2, s[14:15] offset:64
	v_mul_u32_u24_sdwa v2, v25, s12 dst_sel:DWORD dst_unused:UNUSED_PAD src0_sel:WORD_0 src1_sel:DWORD
	v_lshrrev_b32_e32 v32, 20, v2
	v_mul_lo_u16_e32 v2, 18, v32
	v_sub_u16_e32 v34, v25, v2
	v_lshlrev_b16_e32 v2, 3, v34
	v_add_co_u32_e32 v2, vcc, s14, v2
	v_addc_co_u32_e32 v3, vcc, 0, v26, vcc
	global_load_dwordx2 v[23:24], v[2:3], off offset:64
	ds_read2_b32 v[2:3], v1 offset0:124 offset1:250
	ds_read2_b32 v[4:5], v71 offset0:116 offset1:242
	ds_read2_b32 v[6:7], v48 offset1:126
	s_movk_i32 s12, 0xa2
	s_waitcnt lgkmcnt(2)
	v_lshrrev_b32_e32 v35, 16, v3
	s_waitcnt lgkmcnt(1)
	v_lshrrev_b32_e32 v37, 16, v4
	;; [unrolled: 2-line block ×3, first 2 shown]
	s_waitcnt vmcnt(2)
	v_mul_f16_sdwa v36, v3, v19 dst_sel:DWORD dst_unused:UNUSED_PAD src0_sel:DWORD src1_sel:WORD_1
	v_fma_f16 v36, v35, v19, v36
	v_mul_f16_sdwa v35, v35, v19 dst_sel:DWORD dst_unused:UNUSED_PAD src0_sel:DWORD src1_sel:WORD_1
	v_mul_f16_sdwa v38, v4, v20 dst_sel:DWORD dst_unused:UNUSED_PAD src0_sel:DWORD src1_sel:WORD_1
	v_fma_f16 v3, v3, v19, -v35
	v_mul_f16_sdwa v35, v37, v20 dst_sel:DWORD dst_unused:UNUSED_PAD src0_sel:DWORD src1_sel:WORD_1
	v_fma_f16 v38, v37, v20, v38
	v_fma_f16 v4, v4, v20, -v35
	v_add_f16_e32 v40, v39, v36
	v_sub_f16_e32 v41, v36, v38
	v_add_f16_e32 v36, v36, v38
	v_add_f16_e32 v37, v3, v4
	;; [unrolled: 1-line block ×3, first 2 shown]
	v_fma_f16 v36, v36, -0.5, v39
	v_add_f16_e32 v35, v6, v3
	v_sub_f16_e32 v38, v3, v4
	v_mul_u32_u24_e32 v3, 54, v28
	v_fma_f16 v6, v37, -0.5, v6
	v_add_f16_e32 v35, v35, v4
	v_add_lshl_u32 v69, v3, v29, 2
	v_fma_f16 v3, v41, s4, v6
	v_fma_f16 v4, v38, s5, v36
	v_pack_b32_f16 v28, v35, v40
	v_pack_b32_f16 v29, v3, v4
	ds_read_b32 v35, v48 offset:4032
	ds_read2_b32 v[3:4], v0 offset0:120 offset1:246
	s_waitcnt vmcnt(0) lgkmcnt(0)
	s_barrier
	ds_write2_b32 v69, v28, v29 offset1:18
	v_lshrrev_b32_e32 v28, 16, v5
	v_mul_f16_sdwa v29, v28, v22 dst_sel:DWORD dst_unused:UNUSED_PAD src0_sel:DWORD src1_sel:WORD_1
	v_fma_f16 v29, v5, v22, -v29
	v_mul_f16_sdwa v5, v5, v22 dst_sel:DWORD dst_unused:UNUSED_PAD src0_sel:DWORD src1_sel:WORD_1
	v_fma_f16 v5, v28, v22, v5
	v_fma_f16 v28, v38, s4, v36
	v_lshrrev_b32_e32 v36, 16, v3
	v_mul_f16_sdwa v37, v3, v21 dst_sel:DWORD dst_unused:UNUSED_PAD src0_sel:DWORD src1_sel:WORD_1
	v_fma_f16 v37, v36, v21, v37
	v_mul_f16_sdwa v36, v36, v21 dst_sel:DWORD dst_unused:UNUSED_PAD src0_sel:DWORD src1_sel:WORD_1
	v_fma_f16 v3, v3, v21, -v36
	v_lshrrev_b32_e32 v38, 16, v7
	v_fma_f16 v6, v41, s5, v6
	v_add_f16_e32 v36, v3, v29
	v_add_f16_e32 v39, v38, v37
	v_fma_f16 v36, v36, -0.5, v7
	v_add_f16_e32 v7, v7, v3
	v_add_f16_e32 v39, v39, v5
	v_sub_f16_e32 v40, v37, v5
	v_add_f16_e32 v5, v37, v5
	v_pack_b32_f16 v6, v6, v28
	v_fma_f16 v5, v5, -0.5, v38
	v_add_f16_e32 v7, v7, v29
	v_sub_f16_e32 v3, v3, v29
	ds_write_b32 v69, v6 offset:144
	v_mul_u32_u24_e32 v6, 54, v30
	v_add_lshl_u32 v70, v6, v31, 2
	v_pack_b32_f16 v6, v7, v39
	v_fma_f16 v7, v40, s4, v36
	v_fma_f16 v28, v3, s5, v5
	v_pack_b32_f16 v7, v7, v28
	ds_write2_b32 v70, v6, v7 offset1:18
	v_lshrrev_b32_e32 v6, 16, v4
	v_mul_f16_sdwa v7, v6, v23 dst_sel:DWORD dst_unused:UNUSED_PAD src0_sel:DWORD src1_sel:WORD_1
	v_fma_f16 v7, v4, v23, -v7
	v_mul_f16_sdwa v4, v4, v23 dst_sel:DWORD dst_unused:UNUSED_PAD src0_sel:DWORD src1_sel:WORD_1
	v_fma_f16 v4, v6, v23, v4
	v_lshrrev_b32_e32 v6, 16, v35
	v_mul_f16_sdwa v28, v6, v24 dst_sel:DWORD dst_unused:UNUSED_PAD src0_sel:DWORD src1_sel:WORD_1
	v_mul_f16_sdwa v29, v35, v24 dst_sel:DWORD dst_unused:UNUSED_PAD src0_sel:DWORD src1_sel:WORD_1
	v_fma_f16 v28, v35, v24, -v28
	v_fma_f16 v6, v6, v24, v29
	v_lshrrev_b32_e32 v30, 16, v2
	v_fma_f16 v29, v40, s5, v36
	v_fma_f16 v3, v3, s4, v5
	v_add_f16_e32 v5, v7, v28
	v_add_f16_e32 v31, v30, v4
	v_sub_f16_e32 v35, v4, v6
	v_add_f16_e32 v4, v4, v6
	v_fma_f16 v5, v5, -0.5, v2
	v_add_f16_e32 v2, v2, v7
	v_add_f16_e32 v31, v31, v6
	v_fma_f16 v4, v4, -0.5, v30
	v_sub_f16_e32 v6, v7, v28
	v_pack_b32_f16 v3, v29, v3
	v_add_f16_e32 v2, v2, v28
	ds_write_b32 v70, v3 offset:144
	v_mad_legacy_u16 v3, v32, 54, v34
	v_fma_f16 v7, v35, s4, v5
	v_fma_f16 v28, v6, s5, v4
	v_pack_b32_f16 v2, v2, v31
	v_pack_b32_f16 v7, v7, v28
	v_lshlrev_b32_e32 v72, 2, v3
	ds_write2_b32 v72, v2, v7 offset1:18
	v_fma_f16 v2, v35, s5, v5
	v_fma_f16 v3, v6, s4, v4
	v_pack_b32_f16 v2, v2, v3
	ds_write_b32 v72, v2 offset:144
	v_lshrrev_b16_e32 v2, 1, v25
	v_mul_u32_u24_e32 v2, 0x97b5, v2
	v_lshrrev_b32_e32 v28, 20, v2
	v_mul_lo_u16_e32 v2, 54, v28
	v_sub_u16_e32 v38, v25, v2
	v_lshlrev_b16_e32 v2, 3, v38
	v_add_co_u32_e32 v2, vcc, s14, v2
	v_addc_co_u32_e32 v3, vcc, 0, v26, vcc
	s_waitcnt lgkmcnt(0)
	s_barrier
	global_load_dwordx2 v[25:26], v[2:3], off offset:208
	v_mov_b32_e32 v2, 19
	v_mul_lo_u16_sdwa v3, v55, v2 dst_sel:DWORD dst_unused:UNUSED_PAD src0_sel:BYTE_0 src1_sel:DWORD
	v_lshrrev_b16_e32 v39, 10, v3
	v_mul_lo_u16_e32 v3, 54, v39
	v_sub_u16_e32 v3, v55, v3
	v_and_b32_e32 v40, 0xff, v3
	v_lshlrev_b32_e32 v3, 3, v40
	global_load_dwordx2 v[31:32], v3, s[14:15] offset:208
	v_mul_lo_u16_sdwa v2, v27, v2 dst_sel:DWORD dst_unused:UNUSED_PAD src0_sel:BYTE_0 src1_sel:DWORD
	v_lshrrev_b16_e32 v41, 10, v2
	v_mul_lo_u16_e32 v2, 54, v41
	v_sub_u16_e32 v2, v27, v2
	v_and_b32_e32 v42, 0xff, v2
	v_lshlrev_b32_e32 v2, 3, v42
	global_load_dwordx2 v[29:30], v2, s[14:15] offset:208
	ds_read_b32 v4, v48 offset:4032
	ds_read2_b32 v[2:3], v0 offset0:120 offset1:246
	ds_read2_b32 v[34:35], v48 offset1:126
	s_waitcnt lgkmcnt(2)
	v_lshrrev_b32_e32 v5, 16, v4
	s_waitcnt lgkmcnt(0)
	v_lshrrev_b32_e32 v74, 16, v34
	s_waitcnt vmcnt(2)
	v_mul_f16_sdwa v6, v5, v26 dst_sel:DWORD dst_unused:UNUSED_PAD src0_sel:DWORD src1_sel:WORD_1
	v_fma_f16 v43, v4, v26, -v6
	v_mul_f16_sdwa v4, v4, v26 dst_sel:DWORD dst_unused:UNUSED_PAD src0_sel:DWORD src1_sel:WORD_1
	v_fma_f16 v44, v5, v26, v4
	ds_read2_b32 v[4:5], v1 offset0:124 offset1:250
	v_lshrrev_b32_e32 v6, 16, v3
	v_mul_f16_sdwa v7, v3, v25 dst_sel:DWORD dst_unused:UNUSED_PAD src0_sel:DWORD src1_sel:WORD_1
	v_fma_f16 v1, v6, v25, v7
	v_mul_f16_sdwa v6, v6, v25 dst_sel:DWORD dst_unused:UNUSED_PAD src0_sel:DWORD src1_sel:WORD_1
	v_fma_f16 v3, v3, v25, -v6
	v_add_f16_e32 v6, v3, v43
	s_waitcnt lgkmcnt(0)
	v_fma_f16 v6, v6, -0.5, v4
	v_sub_f16_e32 v7, v1, v44
	v_fma_f16 v36, v7, s4, v6
	v_fma_f16 v37, v7, s5, v6
	ds_read2_b32 v[6:7], v71 offset0:116 offset1:242
	v_lshrrev_b32_e32 v45, 16, v5
	s_waitcnt vmcnt(1)
	v_mul_f16_sdwa v46, v5, v31 dst_sel:DWORD dst_unused:UNUSED_PAD src0_sel:DWORD src1_sel:WORD_1
	v_fma_f16 v46, v45, v31, v46
	v_mul_f16_sdwa v45, v45, v31 dst_sel:DWORD dst_unused:UNUSED_PAD src0_sel:DWORD src1_sel:WORD_1
	s_waitcnt lgkmcnt(0)
	v_lshrrev_b32_e32 v47, 16, v6
	v_mul_f16_sdwa v73, v6, v32 dst_sel:DWORD dst_unused:UNUSED_PAD src0_sel:DWORD src1_sel:WORD_1
	v_fma_f16 v5, v5, v31, -v45
	v_mul_f16_sdwa v45, v47, v32 dst_sel:DWORD dst_unused:UNUSED_PAD src0_sel:DWORD src1_sel:WORD_1
	v_fma_f16 v73, v47, v32, v73
	v_fma_f16 v6, v6, v32, -v45
	v_add_f16_e32 v75, v74, v46
	v_sub_f16_e32 v76, v46, v73
	v_add_f16_e32 v46, v46, v73
	v_add_f16_e32 v45, v34, v5
	;; [unrolled: 1-line block ×3, first 2 shown]
	v_fma_f16 v46, v46, -0.5, v74
	v_add_f16_e32 v45, v45, v6
	v_sub_f16_e32 v5, v5, v6
	v_mul_u32_u24_e32 v6, 0xa2, v39
	v_fma_f16 v34, v47, -0.5, v34
	v_add_f16_e32 v75, v75, v73
	v_add_lshl_u32 v73, v6, v40, 2
	v_fma_f16 v39, v76, s4, v34
	v_fma_f16 v40, v5, s5, v46
	v_pack_b32_f16 v6, v45, v75
	v_pack_b32_f16 v39, v39, v40
	s_waitcnt vmcnt(0)
	s_barrier
	ds_write2_b32 v73, v6, v39 offset1:54
	v_lshrrev_b32_e32 v6, 16, v2
	v_mul_f16_sdwa v39, v6, v29 dst_sel:DWORD dst_unused:UNUSED_PAD src0_sel:DWORD src1_sel:WORD_1
	v_fma_f16 v39, v2, v29, -v39
	v_mul_f16_sdwa v2, v2, v29 dst_sel:DWORD dst_unused:UNUSED_PAD src0_sel:DWORD src1_sel:WORD_1
	v_fma_f16 v2, v6, v29, v2
	v_lshrrev_b32_e32 v6, 16, v7
	v_mul_f16_sdwa v40, v6, v30 dst_sel:DWORD dst_unused:UNUSED_PAD src0_sel:DWORD src1_sel:WORD_1
	v_fma_f16 v40, v7, v30, -v40
	v_mul_f16_sdwa v7, v7, v30 dst_sel:DWORD dst_unused:UNUSED_PAD src0_sel:DWORD src1_sel:WORD_1
	v_fma_f16 v6, v6, v30, v7
	v_fma_f16 v7, v76, s5, v34
	;; [unrolled: 1-line block ×3, first 2 shown]
	v_add_f16_e32 v34, v39, v40
	v_lshrrev_b32_e32 v45, 16, v35
	v_fma_f16 v34, v34, -0.5, v35
	v_add_f16_e32 v35, v35, v39
	v_add_f16_e32 v46, v45, v2
	v_sub_f16_e32 v47, v2, v6
	v_add_f16_e32 v2, v2, v6
	v_pack_b32_f16 v5, v7, v5
	v_add_f16_e32 v46, v46, v6
	v_fma_f16 v2, v2, -0.5, v45
	v_add_f16_e32 v6, v35, v40
	v_sub_f16_e32 v35, v39, v40
	ds_write_b32 v73, v5 offset:432
	v_mul_u32_u24_e32 v5, 0xa2, v41
	v_add_lshl_u32 v74, v5, v42, 2
	v_pack_b32_f16 v5, v6, v46
	v_fma_f16 v6, v47, s4, v34
	v_fma_f16 v7, v35, s5, v2
	v_pack_b32_f16 v6, v6, v7
	ds_write2_b32 v74, v5, v6 offset1:54
	v_lshrrev_b32_e32 v6, 16, v4
	v_fma_f16 v5, v47, s5, v34
	v_fma_f16 v2, v35, s4, v2
	v_add_f16_e32 v7, v6, v1
	v_add_f16_e32 v1, v1, v44
	;; [unrolled: 1-line block ×3, first 2 shown]
	v_fma_f16 v1, v1, -0.5, v6
	v_sub_f16_e32 v3, v3, v43
	v_pack_b32_f16 v2, v5, v2
	v_add_f16_e32 v7, v7, v44
	v_add_f16_e32 v4, v4, v43
	ds_write_b32 v74, v2 offset:432
	v_mad_legacy_u16 v2, v28, s12, v38
	v_fma_f16 v76, v3, s5, v1
	v_fma_f16 v78, v3, s4, v1
	v_pack_b32_f16 v4, v4, v7
	v_lshlrev_b32_e32 v75, 2, v2
	v_pack_b32_f16 v2, v36, v76
	v_pack_b32_f16 v1, v37, v78
	ds_write2_b32 v75, v4, v2 offset1:54
	ds_write_b32 v75, v1 offset:432
	s_waitcnt lgkmcnt(0)
	s_barrier
	ds_read_b32 v77, v48 offset:3888
	ds_read2_b32 v[38:39], v48 offset1:162
	ds_read2_b32 v[42:43], v80 offset0:68 offset1:230
	ds_read2_b32 v[40:41], v71 offset0:8 offset1:170
	v_cmp_gt_u16_e64 s[4:5], 36, v55
                                        ; implicit-def: $vgpr45
                                        ; implicit-def: $vgpr47
	s_and_saveexec_b64 s[16:17], s[4:5]
	s_cbranch_execz .LBB0_9
; %bb.8:
	v_add_u32_e32 v1, 0x100, v48
	ds_read2_b32 v[36:37], v1 offset0:62 offset1:224
	ds_read2_b32 v[44:45], v0 offset0:66 offset1:228
	v_add_u32_e32 v0, 0xc00, v48
	ds_read2_b32 v[46:47], v0 offset0:6 offset1:168
	ds_read_b32 v79, v48 offset:4392
	s_waitcnt lgkmcnt(3)
	v_lshrrev_b32_e32 v76, 16, v36
	v_lshrrev_b32_e32 v78, 16, v37
	s_waitcnt lgkmcnt(2)
	v_lshrrev_b32_e32 v82, 16, v45
	s_waitcnt lgkmcnt(1)
	v_lshrrev_b32_e32 v84, 16, v46
	v_lshrrev_b32_e32 v81, 16, v47
	s_waitcnt lgkmcnt(0)
	v_lshrrev_b32_e32 v83, 16, v79
	v_mov_b32_e32 v33, v44
.LBB0_9:
	s_or_b64 exec, exec, s[16:17]
	v_mad_u64_u32 v[0:1], s[16:17], v55, 24, s[14:15]
	v_subrev_u32_e32 v2, 36, v55
	v_cndmask_b32_e64 v2, v2, v27, s[4:5]
	global_load_dwordx4 v[4:7], v[0:1], off offset:640
	global_load_dwordx2 v[34:35], v[0:1], off offset:656
	v_mul_hi_i32_i24_e32 v27, 24, v2
	v_mul_i32_i24_e32 v2, 24, v2
	v_mov_b32_e32 v3, s15
	v_add_co_u32_e32 v85, vcc, s14, v2
	v_addc_co_u32_e32 v86, vcc, v3, v27, vcc
	global_load_dwordx4 v[0:3], v[85:86], off offset:640
	global_load_dwordx2 v[27:28], v[85:86], off offset:656
	s_waitcnt lgkmcnt(2)
	v_lshrrev_b32_e32 v44, 16, v39
	s_waitcnt lgkmcnt(1)
	v_lshrrev_b32_e32 v85, 16, v42
	;; [unrolled: 2-line block ×3, first 2 shown]
	v_lshrrev_b32_e32 v89, 16, v77
	v_lshrrev_b32_e32 v86, 16, v43
	;; [unrolled: 1-line block ×4, first 2 shown]
	s_movk_i32 s12, 0x2b26
	s_movk_i32 s14, 0x3b00
	s_mov_b32 s15, 0xbcab
	s_movk_i32 s16, 0x39e0
	s_mov_b32 s17, 0xb9e0
	s_movk_i32 s18, 0x3574
	s_mov_b32 s19, 0xb574
	s_movk_i32 s20, 0x370e
	s_waitcnt vmcnt(3)
	v_mul_f16_sdwa v91, v44, v4 dst_sel:DWORD dst_unused:UNUSED_PAD src0_sel:DWORD src1_sel:WORD_1
	v_mul_f16_sdwa v92, v39, v4 dst_sel:DWORD dst_unused:UNUSED_PAD src0_sel:DWORD src1_sel:WORD_1
	;; [unrolled: 1-line block ×4, first 2 shown]
	s_waitcnt vmcnt(2)
	v_mul_f16_sdwa v99, v88, v34 dst_sel:DWORD dst_unused:UNUSED_PAD src0_sel:DWORD src1_sel:WORD_1
	v_mul_f16_sdwa v100, v41, v34 dst_sel:DWORD dst_unused:UNUSED_PAD src0_sel:DWORD src1_sel:WORD_1
	;; [unrolled: 1-line block ×8, first 2 shown]
	v_fma_f16 v39, v39, v4, -v91
	v_fma_f16 v44, v44, v4, v92
	v_fma_f16 v42, v42, v5, -v93
	v_fma_f16 v85, v85, v5, v94
	;; [unrolled: 2-line block ×6, first 2 shown]
	v_add_f16_e32 v91, v39, v77
	v_add_f16_e32 v92, v44, v89
	v_sub_f16_e32 v39, v39, v77
	v_sub_f16_e32 v44, v44, v89
	v_add_f16_e32 v77, v42, v41
	v_add_f16_e32 v89, v85, v88
	v_sub_f16_e32 v41, v42, v41
	v_sub_f16_e32 v42, v85, v88
	;; [unrolled: 4-line block ×4, first 2 shown]
	v_sub_f16_e32 v91, v91, v85
	v_sub_f16_e32 v92, v92, v88
	;; [unrolled: 1-line block ×4, first 2 shown]
	v_add_f16_e32 v95, v40, v41
	v_add_f16_e32 v96, v43, v42
	v_sub_f16_e32 v97, v40, v41
	v_sub_f16_e32 v98, v43, v42
	;; [unrolled: 1-line block ×4, first 2 shown]
	v_add_f16_e32 v85, v85, v86
	v_add_f16_e32 v86, v88, v87
	v_sub_f16_e32 v40, v39, v40
	v_sub_f16_e32 v43, v44, v43
	v_add_f16_e32 v39, v95, v39
	v_add_f16_e32 v44, v96, v44
	;; [unrolled: 1-line block ×3, first 2 shown]
	v_add_f16_sdwa v88, v38, v86 dst_sel:DWORD dst_unused:UNUSED_PAD src0_sel:WORD_1 src1_sel:DWORD
	v_mul_f16_e32 v38, 0x3a52, v91
	v_mul_f16_e32 v91, 0x3a52, v92
	;; [unrolled: 1-line block ×8, first 2 shown]
	s_waitcnt vmcnt(1)
	v_mul_f16_sdwa v103, v78, v0 dst_sel:DWORD dst_unused:UNUSED_PAD src0_sel:DWORD src1_sel:WORD_1
	v_mul_f16_sdwa v104, v37, v0 dst_sel:DWORD dst_unused:UNUSED_PAD src0_sel:DWORD src1_sel:WORD_1
	;; [unrolled: 1-line block ×4, first 2 shown]
	s_waitcnt vmcnt(0)
	v_mul_f16_sdwa v111, v81, v27 dst_sel:DWORD dst_unused:UNUSED_PAD src0_sel:DWORD src1_sel:WORD_1
	v_mul_f16_sdwa v112, v47, v27 dst_sel:DWORD dst_unused:UNUSED_PAD src0_sel:DWORD src1_sel:WORD_1
	;; [unrolled: 1-line block ×4, first 2 shown]
	v_fma_f16 v85, v85, s15, v87
	v_fma_f16 v86, v86, s15, v88
	;; [unrolled: 1-line block ×4, first 2 shown]
	v_fma_f16 v92, v93, s16, -v92
	v_fma_f16 v95, v94, s16, -v95
	;; [unrolled: 1-line block ×4, first 2 shown]
	v_fma_f16 v93, v40, s18, v96
	v_fma_f16 v94, v43, s18, v97
	v_fma_f16 v41, v41, s14, -v96
	v_fma_f16 v42, v42, s14, -v97
	;; [unrolled: 1-line block ×4, first 2 shown]
	v_mul_f16_sdwa v107, v82, v2 dst_sel:DWORD dst_unused:UNUSED_PAD src0_sel:DWORD src1_sel:WORD_1
	v_mul_f16_sdwa v108, v45, v2 dst_sel:DWORD dst_unused:UNUSED_PAD src0_sel:DWORD src1_sel:WORD_1
	;; [unrolled: 1-line block ×4, first 2 shown]
	v_fma_f16 v37, v37, v0, -v103
	v_fma_f16 v78, v78, v0, v104
	v_fma_f16 v33, v33, v1, -v105
	v_fma_f16 v90, v90, v1, v106
	;; [unrolled: 2-line block ×4, first 2 shown]
	v_add_f16_e32 v77, v77, v85
	v_add_f16_e32 v89, v89, v86
	;; [unrolled: 1-line block ×6, first 2 shown]
	v_fma_f16 v86, v39, s20, v93
	v_fma_f16 v91, v44, s20, v94
	;; [unrolled: 1-line block ×6, first 2 shown]
	v_fma_f16 v45, v45, v2, -v107
	v_fma_f16 v82, v82, v2, v108
	v_fma_f16 v46, v46, v3, -v109
	v_fma_f16 v84, v84, v3, v110
	v_add_f16_e32 v43, v91, v77
	v_add_f16_e32 v93, v40, v38
	v_sub_f16_e32 v94, v85, v39
	v_sub_f16_e32 v96, v92, v42
	v_add_f16_e32 v97, v41, v95
	v_add_f16_e32 v42, v42, v92
	v_sub_f16_e32 v92, v95, v41
	v_sub_f16_e32 v95, v38, v40
	v_add_f16_e32 v85, v39, v85
	v_sub_f16_e32 v91, v77, v91
	v_add_f16_e32 v38, v37, v79
	v_add_f16_e32 v39, v78, v83
	;; [unrolled: 1-line block ×4, first 2 shown]
	v_sub_f16_e32 v37, v37, v79
	v_sub_f16_e32 v40, v78, v83
	v_sub_f16_e32 v33, v33, v47
	v_sub_f16_e32 v47, v90, v81
	v_add_f16_e32 v78, v45, v46
	v_add_f16_e32 v79, v82, v84
	v_sub_f16_e32 v45, v46, v45
	v_sub_f16_e32 v46, v84, v82
	v_add_f16_e32 v81, v41, v38
	v_add_f16_e32 v82, v77, v39
	v_sub_f16_e32 v44, v89, v86
	v_add_f16_e32 v86, v86, v89
	v_sub_f16_e32 v83, v41, v38
	v_sub_f16_e32 v84, v77, v39
	;; [unrolled: 1-line block ×6, first 2 shown]
	v_add_f16_e32 v41, v45, v33
	v_add_f16_e32 v90, v46, v47
	v_sub_f16_e32 v98, v45, v33
	v_sub_f16_e32 v33, v33, v37
	v_add_f16_e32 v78, v78, v81
	v_add_f16_e32 v79, v79, v82
	v_sub_f16_e32 v99, v46, v47
	v_sub_f16_e32 v45, v37, v45
	;; [unrolled: 1-line block ×4, first 2 shown]
	v_add_f16_e32 v37, v41, v37
	v_add_f16_e32 v81, v90, v40
	;; [unrolled: 1-line block ×4, first 2 shown]
	v_mul_f16_e32 v36, 0x3a52, v38
	v_mul_f16_e32 v38, 0x3a52, v39
	v_mul_f16_e32 v39, 0x2b26, v89
	v_mul_f16_e32 v76, 0x2b26, v77
	v_mul_f16_e32 v82, 0xb846, v98
	v_mul_f16_e32 v98, 0x3b00, v33
	v_mul_f16_e32 v90, 0xb846, v99
	v_fma_f16 v79, v79, s15, v41
	v_fma_f16 v89, v89, s12, v36
	;; [unrolled: 1-line block ×3, first 2 shown]
	v_fma_f16 v39, v83, s16, -v39
	v_fma_f16 v76, v84, s16, -v76
	;; [unrolled: 1-line block ×4, first 2 shown]
	v_fma_f16 v83, v45, s18, v82
	v_fma_f16 v33, v33, s14, -v82
	v_fma_f16 v45, v45, s19, -v98
	v_mul_f16_e32 v99, 0x3b00, v47
	v_fma_f16 v84, v46, s18, v90
	v_fma_f16 v47, v47, s14, -v90
	v_add_f16_e32 v90, v77, v79
	v_add_f16_e32 v77, v76, v79
	;; [unrolled: 1-line block ×3, first 2 shown]
	v_fma_f16 v33, v37, s20, v33
	v_fma_f16 v45, v37, s20, v45
	;; [unrolled: 1-line block ×3, first 2 shown]
	v_sub_f16_e32 v83, v79, v45
	v_add_f16_e32 v76, v33, v77
	v_sub_f16_e32 v77, v77, v33
	v_add_f16_e32 v33, v45, v79
	v_pack_b32_f16 v45, v87, v88
	v_pack_b32_f16 v43, v43, v44
	v_fma_f16 v78, v78, s15, v40
	v_fma_f16 v46, v46, s19, -v99
	ds_write2_b32 v48, v45, v43 offset1:162
	v_pack_b32_f16 v43, v93, v94
	v_pack_b32_f16 v44, v96, v97
	v_add_f16_e32 v89, v89, v78
	v_add_f16_e32 v39, v39, v78
	;; [unrolled: 1-line block ×3, first 2 shown]
	v_fma_f16 v84, v81, s20, v84
	v_fma_f16 v38, v81, s20, v47
	;; [unrolled: 1-line block ×3, first 2 shown]
	ds_write2_b32 v80, v43, v44 offset0:68 offset1:230
	v_pack_b32_f16 v42, v42, v92
	v_pack_b32_f16 v43, v95, v85
	v_add_f16_e32 v81, v84, v89
	v_sub_f16_e32 v82, v90, v98
	v_add_f16_e32 v36, v46, v78
	v_sub_f16_e32 v37, v39, v38
	v_add_f16_e32 v38, v38, v39
	v_sub_f16_e32 v39, v78, v46
	v_sub_f16_e32 v78, v89, v84
	v_add_f16_e32 v79, v98, v90
	ds_write2_b32 v71, v42, v43 offset0:8 offset1:170
	v_pack_b32_f16 v42, v91, v86
	ds_write_b32 v48, v42 offset:3888
	s_and_saveexec_b64 s[14:15], s[4:5]
	s_cbranch_execz .LBB0_11
; %bb.10:
	s_mov_b32 s12, 0x5040100
	v_perm_b32 v40, v41, v40, s12
	v_perm_b32 v41, v82, v81, s12
	v_add_u32_e32 v42, 0x100, v48
	ds_write2_b32 v42, v40, v41 offset0:62 offset1:224
	v_perm_b32 v40, v83, v36, s12
	v_perm_b32 v41, v76, v37, s12
	v_add_u32_e32 v42, 0x600, v48
	ds_write2_b32 v42, v40, v41 offset0:66 offset1:228
	;; [unrolled: 4-line block ×3, first 2 shown]
	v_perm_b32 v40, v79, v78, s12
	ds_write_b32 v48, v40 offset:4392
.LBB0_11:
	s_or_b64 exec, exec, s[14:15]
	v_mov_b32_e32 v40, s13
	v_addc_co_u32_e64 v43, vcc, 0, v40, s[2:3]
	v_add_co_u32_e32 v40, vcc, 0x11b8, v8
	s_mov_b64 s[2:3], vcc
	v_add_co_u32_e32 v41, vcc, 0x1000, v8
	v_addc_co_u32_e32 v42, vcc, 0, v43, vcc
	s_waitcnt lgkmcnt(0)
	s_barrier
	global_load_dword v45, v[41:42], off offset:440
	v_addc_co_u32_e64 v41, vcc, 0, v43, s[2:3]
	global_load_dword v71, v[40:41], off offset:504
	global_load_dword v80, v[40:41], off offset:2268
	global_load_dword v88, v[40:41], off offset:2772
	global_load_dword v89, v[40:41], off offset:1008
	global_load_dword v90, v[40:41], off offset:3276
	global_load_dword v91, v[40:41], off offset:3780
	global_load_dword v92, v[40:41], off offset:1512
	ds_read2_b32 v[42:43], v48 offset1:126
	v_add_u32_e32 v44, 0x800, v48
	v_add_u32_e32 v46, 0x200, v48
	;; [unrolled: 1-line block ×4, first 2 shown]
	s_waitcnt lgkmcnt(0)
	v_lshrrev_b32_e32 v84, 16, v42
	v_lshrrev_b32_e32 v85, 16, v43
	v_add_u32_e32 v94, 0x500, v48
	s_waitcnt vmcnt(6)
	v_mul_f16_sdwa v95, v85, v71 dst_sel:DWORD dst_unused:UNUSED_PAD src0_sel:DWORD src1_sel:WORD_1
	v_mul_f16_sdwa v96, v43, v71 dst_sel:DWORD dst_unused:UNUSED_PAD src0_sel:DWORD src1_sel:WORD_1
	;; [unrolled: 1-line block ×4, first 2 shown]
	v_fma_f16 v42, v42, v45, -v86
	v_fma_f16 v45, v84, v45, v87
	v_pack_b32_f16 v42, v42, v45
	ds_write_b32 v48, v42
	v_fma_f16 v84, v43, v71, -v95
	ds_read2_b32 v[42:43], v44 offset0:55 offset1:181
	v_fma_f16 v45, v85, v71, v96
	v_pack_b32_f16 v45, v84, v45
	ds_read2_b32 v[84:85], v46 offset0:124 offset1:250
	ds_read2_b32 v[86:87], v47 offset0:51 offset1:177
	s_waitcnt lgkmcnt(2)
	v_lshrrev_b32_e32 v71, 16, v42
	s_waitcnt vmcnt(5)
	v_mul_f16_sdwa v95, v42, v80 dst_sel:DWORD dst_unused:UNUSED_PAD src0_sel:DWORD src1_sel:WORD_1
	v_lshrrev_b32_e32 v96, 16, v43
	s_waitcnt vmcnt(4)
	v_mul_f16_sdwa v97, v43, v88 dst_sel:DWORD dst_unused:UNUSED_PAD src0_sel:DWORD src1_sel:WORD_1
	s_waitcnt lgkmcnt(1)
	v_lshrrev_b32_e32 v98, 16, v84
	s_waitcnt vmcnt(3)
	v_mul_f16_sdwa v99, v84, v89 dst_sel:DWORD dst_unused:UNUSED_PAD src0_sel:DWORD src1_sel:WORD_1
	s_waitcnt lgkmcnt(0)
	v_lshrrev_b32_e32 v100, 16, v86
	s_waitcnt vmcnt(2)
	v_mul_f16_sdwa v101, v86, v90 dst_sel:DWORD dst_unused:UNUSED_PAD src0_sel:DWORD src1_sel:WORD_1
	v_lshrrev_b32_e32 v102, 16, v85
	s_waitcnt vmcnt(0)
	v_mul_f16_sdwa v103, v85, v92 dst_sel:DWORD dst_unused:UNUSED_PAD src0_sel:DWORD src1_sel:WORD_1
	v_lshrrev_b32_e32 v104, 16, v87
	v_mul_f16_sdwa v106, v71, v80 dst_sel:DWORD dst_unused:UNUSED_PAD src0_sel:DWORD src1_sel:WORD_1
	v_fma_f16 v71, v71, v80, v95
	v_mul_f16_sdwa v95, v96, v88 dst_sel:DWORD dst_unused:UNUSED_PAD src0_sel:DWORD src1_sel:WORD_1
	v_fma_f16 v96, v96, v88, v97
	v_mul_f16_sdwa v97, v98, v89 dst_sel:DWORD dst_unused:UNUSED_PAD src0_sel:DWORD src1_sel:WORD_1
	v_mul_f16_sdwa v105, v87, v91 dst_sel:DWORD dst_unused:UNUSED_PAD src0_sel:DWORD src1_sel:WORD_1
	v_fma_f16 v98, v98, v89, v99
	v_mul_f16_sdwa v99, v100, v90 dst_sel:DWORD dst_unused:UNUSED_PAD src0_sel:DWORD src1_sel:WORD_1
	v_fma_f16 v100, v100, v90, v101
	;; [unrolled: 2-line block ×3, first 2 shown]
	v_mul_f16_sdwa v103, v104, v91 dst_sel:DWORD dst_unused:UNUSED_PAD src0_sel:DWORD src1_sel:WORD_1
	v_fma_f16 v42, v42, v80, -v106
	v_fma_f16 v80, v84, v89, -v97
	v_fma_f16 v104, v104, v91, v105
	v_fma_f16 v43, v43, v88, -v95
	v_fma_f16 v84, v86, v90, -v99
	v_fma_f16 v85, v85, v92, -v101
	v_fma_f16 v86, v87, v91, -v103
	v_pack_b32_f16 v42, v42, v71
	v_pack_b32_f16 v71, v80, v98
	;; [unrolled: 1-line block ×6, first 2 shown]
	ds_write2_b32 v48, v45, v71 offset0:126 offset1:252
	ds_write2_b32 v93, v43, v80 offset0:53 offset1:179
	;; [unrolled: 1-line block ×3, first 2 shown]
	ds_write_b32 v48, v85 offset:3780
	s_and_saveexec_b64 s[2:3], s[0:1]
	s_cbranch_execz .LBB0_13
; %bb.12:
	global_load_dword v42, v[40:41], off offset:2016
	v_add_co_u32_e32 v40, vcc, 0x1000, v40
	v_addc_co_u32_e32 v41, vcc, 0, v41, vcc
	global_load_dword v40, v[40:41], off offset:188
	ds_read_b32 v41, v48 offset:2016
	ds_read_b32 v43, v48 offset:4284
	s_waitcnt lgkmcnt(1)
	v_lshrrev_b32_e32 v45, 16, v41
	s_waitcnt lgkmcnt(0)
	v_lshrrev_b32_e32 v71, 16, v43
	s_waitcnt vmcnt(1)
	v_mul_f16_sdwa v80, v45, v42 dst_sel:DWORD dst_unused:UNUSED_PAD src0_sel:DWORD src1_sel:WORD_1
	v_mul_f16_sdwa v84, v41, v42 dst_sel:DWORD dst_unused:UNUSED_PAD src0_sel:DWORD src1_sel:WORD_1
	v_fma_f16 v41, v41, v42, -v80
	v_fma_f16 v42, v45, v42, v84
	v_pack_b32_f16 v41, v41, v42
	s_waitcnt vmcnt(0)
	v_mul_f16_sdwa v42, v71, v40 dst_sel:DWORD dst_unused:UNUSED_PAD src0_sel:DWORD src1_sel:WORD_1
	v_mul_f16_sdwa v45, v43, v40 dst_sel:DWORD dst_unused:UNUSED_PAD src0_sel:DWORD src1_sel:WORD_1
	ds_write_b32 v48, v41 offset:2016
	v_fma_f16 v41, v43, v40, -v42
	v_fma_f16 v40, v71, v40, v45
	v_pack_b32_f16 v40, v41, v40
	ds_write_b32 v48, v40 offset:4284
.LBB0_13:
	s_or_b64 exec, exec, s[2:3]
	s_waitcnt lgkmcnt(0)
	s_barrier
	ds_read2_b32 v[42:43], v48 offset1:126
	ds_read2_b32 v[44:45], v44 offset0:55 offset1:181
	ds_read2_b32 v[40:41], v46 offset0:124 offset1:250
	ds_read2_b32 v[46:47], v47 offset0:51 offset1:177
	v_add_u32_e32 v62, 0xbd0, v62
	s_and_saveexec_b64 s[2:3], s[0:1]
	s_cbranch_execz .LBB0_15
; %bb.14:
	ds_read_b32 v81, v48 offset:2016
	ds_read_b32 v36, v48 offset:4284
	s_waitcnt lgkmcnt(1)
	v_lshrrev_b32_e32 v82, 16, v81
	s_waitcnt lgkmcnt(0)
	v_lshrrev_b32_e32 v83, 16, v36
.LBB0_15:
	s_or_b64 exec, exec, s[2:3]
	s_waitcnt lgkmcnt(2)
	v_pk_add_f16 v84, v42, v44 neg_lo:[0,1] neg_hi:[0,1]
	v_pk_add_f16 v85, v43, v45 neg_lo:[0,1] neg_hi:[0,1]
	s_waitcnt lgkmcnt(0)
	v_pk_add_f16 v46, v40, v46 neg_lo:[0,1] neg_hi:[0,1]
	v_sub_f16_e32 v44, v82, v83
	v_pk_fma_f16 v83, v42, 2.0, v84 op_sel_hi:[1,0,1] neg_lo:[0,0,1] neg_hi:[0,0,1]
	v_pk_add_f16 v47, v41, v47 neg_lo:[0,1] neg_hi:[0,1]
	s_barrier
	ds_write_b64 v59, v[83:84]
	v_pk_fma_f16 v84, v43, 2.0, v85 op_sel_hi:[1,0,1] neg_lo:[0,0,1] neg_hi:[0,0,1]
	v_pk_fma_f16 v45, v40, 2.0, v46 op_sel_hi:[1,0,1] neg_lo:[0,0,1] neg_hi:[0,0,1]
	v_sub_f16_e32 v36, v81, v36
	ds_write_b64 v60, v[84:85]
	ds_write_b64 v61, v[45:46]
	v_pk_fma_f16 v46, v41, 2.0, v47 op_sel_hi:[1,0,1] neg_lo:[0,0,1] neg_hi:[0,0,1]
	ds_write_b64 v62, v[46:47]
	s_and_saveexec_b64 s[2:3], s[0:1]
	s_cbranch_execz .LBB0_17
; %bb.16:
	v_fma_f16 v40, v81, 2.0, -v36
	v_fma_f16 v41, v82, 2.0, -v44
	s_mov_b32 s12, 0x5040100
	v_pack_b32_f16 v40, v40, v41
	v_perm_b32 v41, v44, v36, s12
	ds_write_b64 v58, v[40:41]
.LBB0_17:
	s_or_b64 exec, exec, s[2:3]
	v_add_u32_e32 v47, 0x200, v48
	s_waitcnt lgkmcnt(0)
	s_barrier
	ds_read2_b32 v[45:46], v47 offset0:124 offset1:250
	v_add_u32_e32 v40, 0xa00, v48
	ds_read2_b32 v[58:59], v40 offset0:116 offset1:242
	v_add_u32_e32 v41, 0x600, v48
	ds_read2_b32 v[60:61], v41 offset0:120 offset1:246
	s_waitcnt lgkmcnt(2)
	v_lshrrev_b32_e32 v71, 16, v46
	v_mul_f16_sdwa v88, v11, v71 dst_sel:DWORD dst_unused:UNUSED_PAD src0_sel:WORD_1 src1_sel:DWORD
	s_waitcnt lgkmcnt(1)
	v_lshrrev_b32_e32 v80, 16, v58
	v_fma_f16 v88, v11, v46, v88
	v_mul_f16_sdwa v46, v11, v46 dst_sel:DWORD dst_unused:UNUSED_PAD src0_sel:WORD_1 src1_sel:DWORD
	v_fma_f16 v46, v11, v71, -v46
	v_mul_f16_sdwa v71, v12, v80 dst_sel:DWORD dst_unused:UNUSED_PAD src0_sel:WORD_1 src1_sel:DWORD
	s_waitcnt lgkmcnt(0)
	v_lshrrev_b32_e32 v83, 16, v60
	v_fma_f16 v71, v12, v58, v71
	v_mul_f16_sdwa v58, v12, v58 dst_sel:DWORD dst_unused:UNUSED_PAD src0_sel:WORD_1 src1_sel:DWORD
	ds_read_b32 v82, v48 offset:4032
	v_fma_f16 v58, v12, v80, -v58
	v_mul_f16_sdwa v80, v11, v83 dst_sel:DWORD dst_unused:UNUSED_PAD src0_sel:WORD_1 src1_sel:DWORD
	v_lshrrev_b32_e32 v84, 16, v59
	v_fma_f16 v80, v11, v60, v80
	v_mul_f16_sdwa v60, v11, v60 dst_sel:DWORD dst_unused:UNUSED_PAD src0_sel:WORD_1 src1_sel:DWORD
	v_fma_f16 v60, v11, v83, -v60
	v_mul_f16_sdwa v83, v12, v84 dst_sel:DWORD dst_unused:UNUSED_PAD src0_sel:WORD_1 src1_sel:DWORD
	ds_read2_b32 v[42:43], v48 offset1:126
	v_lshrrev_b32_e32 v86, 16, v61
	v_fma_f16 v83, v12, v59, v83
	v_mul_f16_sdwa v59, v12, v59 dst_sel:DWORD dst_unused:UNUSED_PAD src0_sel:WORD_1 src1_sel:DWORD
	v_fma_f16 v59, v12, v84, -v59
	v_mul_f16_sdwa v84, v11, v86 dst_sel:DWORD dst_unused:UNUSED_PAD src0_sel:WORD_1 src1_sel:DWORD
	s_waitcnt lgkmcnt(1)
	v_lshrrev_b32_e32 v87, 16, v82
	v_fma_f16 v84, v11, v61, v84
	v_mul_f16_sdwa v61, v11, v61 dst_sel:DWORD dst_unused:UNUSED_PAD src0_sel:WORD_1 src1_sel:DWORD
	v_fma_f16 v11, v11, v86, -v61
	v_mul_f16_sdwa v61, v12, v87 dst_sel:DWORD dst_unused:UNUSED_PAD src0_sel:WORD_1 src1_sel:DWORD
	v_fma_f16 v61, v12, v82, v61
	v_mul_f16_sdwa v82, v12, v82 dst_sel:DWORD dst_unused:UNUSED_PAD src0_sel:WORD_1 src1_sel:DWORD
	v_add_f16_e32 v86, v88, v71
	s_waitcnt lgkmcnt(0)
	v_lshrrev_b32_e32 v62, 16, v42
	v_fma_f16 v12, v12, v87, -v82
	v_add_f16_e32 v82, v42, v88
	v_fma_f16 v42, v86, -0.5, v42
	v_sub_f16_e32 v86, v46, v58
	s_mov_b32 s2, 0xbaee
	s_movk_i32 s3, 0x3aee
	v_fma_f16 v87, v86, s2, v42
	v_fma_f16 v42, v86, s3, v42
	v_add_f16_e32 v86, v62, v46
	v_add_f16_e32 v46, v46, v58
	;; [unrolled: 1-line block ×4, first 2 shown]
	v_fma_f16 v46, v46, -0.5, v62
	v_sub_f16_e32 v58, v88, v71
	v_add_f16_e32 v71, v80, v83
	v_lshrrev_b32_e32 v81, 16, v43
	v_fma_f16 v62, v58, s3, v46
	v_fma_f16 v46, v58, s2, v46
	v_add_f16_e32 v58, v43, v80
	v_fma_f16 v43, v71, -0.5, v43
	v_sub_f16_e32 v71, v60, v59
	v_fma_f16 v88, v71, s2, v43
	v_fma_f16 v43, v71, s3, v43
	v_add_f16_e32 v71, v81, v60
	v_add_f16_e32 v71, v71, v59
	;; [unrolled: 1-line block ×3, first 2 shown]
	v_fma_f16 v59, v59, -0.5, v81
	v_sub_f16_e32 v60, v80, v83
	v_add_f16_e32 v81, v84, v61
	v_lshrrev_b32_e32 v85, 16, v45
	v_fma_f16 v80, v60, s3, v59
	v_fma_f16 v59, v60, s2, v59
	v_add_f16_e32 v60, v45, v84
	v_fma_f16 v45, v81, -0.5, v45
	v_sub_f16_e32 v81, v11, v12
	v_add_f16_e32 v58, v58, v83
	v_fma_f16 v83, v81, s2, v45
	v_fma_f16 v45, v81, s3, v45
	v_add_f16_e32 v81, v85, v11
	v_add_f16_e32 v11, v11, v12
	;; [unrolled: 1-line block ×3, first 2 shown]
	v_fma_f16 v11, v11, -0.5, v85
	v_sub_f16_e32 v12, v84, v61
	v_add_f16_e32 v60, v60, v61
	v_fma_f16 v61, v12, s3, v11
	v_fma_f16 v11, v12, s2, v11
	v_pack_b32_f16 v12, v82, v86
	v_pack_b32_f16 v62, v87, v62
	s_barrier
	ds_write2_b32 v63, v12, v62 offset1:2
	v_pack_b32_f16 v12, v42, v46
	ds_write_b32 v63, v12 offset:16
	v_pack_b32_f16 v12, v58, v71
	v_pack_b32_f16 v42, v88, v80
	ds_write2_b32 v64, v12, v42 offset1:2
	v_pack_b32_f16 v12, v43, v59
	ds_write_b32 v64, v12 offset:16
	v_pack_b32_f16 v12, v60, v81
	v_pack_b32_f16 v42, v83, v61
	;; [unrolled: 1-line block ×3, first 2 shown]
	ds_write2_b32 v65, v12, v42 offset1:2
	ds_write_b32 v65, v11 offset:16
	s_waitcnt lgkmcnt(0)
	s_barrier
	ds_read2_b32 v[11:12], v48 offset1:126
	ds_read2_b32 v[42:43], v47 offset0:124 offset1:250
	ds_read2_b32 v[45:46], v40 offset0:116 offset1:242
	;; [unrolled: 1-line block ×3, first 2 shown]
	ds_read_b32 v64, v48 offset:4032
	s_waitcnt lgkmcnt(4)
	v_lshrrev_b32_e32 v60, 16, v11
	s_waitcnt lgkmcnt(3)
	v_lshrrev_b32_e32 v61, 16, v43
	v_mul_f16_sdwa v83, v13, v61 dst_sel:DWORD dst_unused:UNUSED_PAD src0_sel:WORD_1 src1_sel:DWORD
	s_waitcnt lgkmcnt(2)
	v_lshrrev_b32_e32 v62, 16, v45
	v_fma_f16 v83, v13, v43, v83
	v_mul_f16_sdwa v43, v13, v43 dst_sel:DWORD dst_unused:UNUSED_PAD src0_sel:WORD_1 src1_sel:DWORD
	v_fma_f16 v13, v13, v61, -v43
	v_mul_f16_sdwa v43, v14, v62 dst_sel:DWORD dst_unused:UNUSED_PAD src0_sel:WORD_1 src1_sel:DWORD
	s_waitcnt lgkmcnt(1)
	v_lshrrev_b32_e32 v65, 16, v58
	v_fma_f16 v43, v14, v45, v43
	v_mul_f16_sdwa v45, v14, v45 dst_sel:DWORD dst_unused:UNUSED_PAD src0_sel:WORD_1 src1_sel:DWORD
	v_fma_f16 v14, v14, v62, -v45
	v_mul_f16_sdwa v45, v15, v65 dst_sel:DWORD dst_unused:UNUSED_PAD src0_sel:WORD_1 src1_sel:DWORD
	v_lshrrev_b32_e32 v71, 16, v46
	v_fma_f16 v45, v15, v58, v45
	v_mul_f16_sdwa v58, v15, v58 dst_sel:DWORD dst_unused:UNUSED_PAD src0_sel:WORD_1 src1_sel:DWORD
	v_fma_f16 v15, v15, v65, -v58
	v_mul_f16_sdwa v58, v16, v71 dst_sel:DWORD dst_unused:UNUSED_PAD src0_sel:WORD_1 src1_sel:DWORD
	;; [unrolled: 5-line block ×3, first 2 shown]
	s_waitcnt lgkmcnt(0)
	v_lshrrev_b32_e32 v82, 16, v64
	v_fma_f16 v46, v17, v59, v46
	v_mul_f16_sdwa v59, v17, v59 dst_sel:DWORD dst_unused:UNUSED_PAD src0_sel:WORD_1 src1_sel:DWORD
	v_fma_f16 v17, v17, v81, -v59
	v_mul_f16_sdwa v59, v18, v82 dst_sel:DWORD dst_unused:UNUSED_PAD src0_sel:WORD_1 src1_sel:DWORD
	v_mul_f16_sdwa v61, v18, v64 dst_sel:DWORD dst_unused:UNUSED_PAD src0_sel:WORD_1 src1_sel:DWORD
	v_add_f16_e32 v62, v83, v43
	v_fma_f16 v59, v18, v64, v59
	v_fma_f16 v18, v18, v82, -v61
	v_add_f16_e32 v61, v11, v83
	v_fma_f16 v11, v62, -0.5, v11
	v_sub_f16_e32 v62, v13, v14
	v_fma_f16 v64, v62, s2, v11
	v_fma_f16 v11, v62, s3, v11
	v_add_f16_e32 v62, v60, v13
	v_add_f16_e32 v13, v13, v14
	;; [unrolled: 1-line block ×3, first 2 shown]
	v_fma_f16 v13, v13, -0.5, v60
	v_sub_f16_e32 v14, v83, v43
	v_add_f16_e32 v60, v45, v58
	v_lshrrev_b32_e32 v63, 16, v12
	v_add_f16_e32 v61, v61, v43
	v_fma_f16 v43, v14, s3, v13
	v_fma_f16 v13, v14, s2, v13
	v_add_f16_e32 v14, v12, v45
	v_fma_f16 v12, v60, -0.5, v12
	v_sub_f16_e32 v60, v15, v16
	v_fma_f16 v65, v60, s2, v12
	v_fma_f16 v12, v60, s3, v12
	v_add_f16_e32 v60, v63, v15
	v_add_f16_e32 v15, v15, v16
	;; [unrolled: 1-line block ×4, first 2 shown]
	v_fma_f16 v15, v15, -0.5, v63
	v_sub_f16_e32 v16, v45, v58
	v_add_f16_e32 v58, v46, v59
	v_lshrrev_b32_e32 v80, 16, v42
	v_fma_f16 v45, v16, s3, v15
	v_fma_f16 v15, v16, s2, v15
	v_add_f16_e32 v16, v42, v46
	v_fma_f16 v42, v58, -0.5, v42
	v_sub_f16_e32 v58, v17, v18
	v_fma_f16 v63, v58, s2, v42
	v_fma_f16 v42, v58, s3, v42
	v_add_f16_e32 v58, v80, v17
	v_add_f16_e32 v17, v17, v18
	;; [unrolled: 1-line block ×3, first 2 shown]
	v_fma_f16 v17, v17, -0.5, v80
	v_sub_f16_e32 v18, v46, v59
	v_pack_b32_f16 v11, v11, v13
	v_fma_f16 v46, v18, s3, v17
	v_fma_f16 v17, v18, s2, v17
	s_barrier
	v_pack_b32_f16 v18, v61, v62
	v_pack_b32_f16 v43, v64, v43
	ds_write_b32 v66, v11 offset:48
	v_pack_b32_f16 v11, v14, v60
	v_pack_b32_f16 v13, v65, v45
	v_add_f16_e32 v16, v16, v59
	ds_write2_b32 v66, v18, v43 offset1:6
	ds_write2_b32 v67, v11, v13 offset1:6
	v_pack_b32_f16 v11, v12, v15
	ds_write_b32 v67, v11 offset:48
	v_pack_b32_f16 v11, v16, v58
	v_pack_b32_f16 v12, v63, v46
	ds_write2_b32 v68, v11, v12 offset1:6
	v_pack_b32_f16 v11, v42, v17
	ds_write_b32 v68, v11 offset:48
	s_waitcnt lgkmcnt(0)
	s_barrier
	ds_read2_b32 v[11:12], v48 offset1:126
	ds_read2_b32 v[13:14], v47 offset0:124 offset1:250
	ds_read2_b32 v[15:16], v40 offset0:116 offset1:242
	;; [unrolled: 1-line block ×3, first 2 shown]
	ds_read_b32 v58, v48 offset:4032
	s_waitcnt lgkmcnt(4)
	v_lshrrev_b32_e32 v42, 16, v11
	s_waitcnt lgkmcnt(3)
	v_lshrrev_b32_e32 v43, 16, v14
	v_mul_f16_sdwa v64, v19, v43 dst_sel:DWORD dst_unused:UNUSED_PAD src0_sel:WORD_1 src1_sel:DWORD
	s_waitcnt lgkmcnt(2)
	v_lshrrev_b32_e32 v45, 16, v15
	v_fma_f16 v64, v19, v14, v64
	v_mul_f16_sdwa v14, v19, v14 dst_sel:DWORD dst_unused:UNUSED_PAD src0_sel:WORD_1 src1_sel:DWORD
	v_fma_f16 v14, v19, v43, -v14
	v_mul_f16_sdwa v19, v20, v45 dst_sel:DWORD dst_unused:UNUSED_PAD src0_sel:WORD_1 src1_sel:DWORD
	s_waitcnt lgkmcnt(1)
	v_lshrrev_b32_e32 v59, 16, v17
	v_fma_f16 v19, v20, v15, v19
	v_mul_f16_sdwa v15, v20, v15 dst_sel:DWORD dst_unused:UNUSED_PAD src0_sel:WORD_1 src1_sel:DWORD
	v_fma_f16 v15, v20, v45, -v15
	v_mul_f16_sdwa v20, v21, v59 dst_sel:DWORD dst_unused:UNUSED_PAD src0_sel:WORD_1 src1_sel:DWORD
	v_lshrrev_b32_e32 v60, 16, v16
	v_fma_f16 v20, v21, v17, v20
	v_mul_f16_sdwa v17, v21, v17 dst_sel:DWORD dst_unused:UNUSED_PAD src0_sel:WORD_1 src1_sel:DWORD
	v_fma_f16 v17, v21, v59, -v17
	v_mul_f16_sdwa v21, v22, v60 dst_sel:DWORD dst_unused:UNUSED_PAD src0_sel:WORD_1 src1_sel:DWORD
	;; [unrolled: 5-line block ×3, first 2 shown]
	s_waitcnt lgkmcnt(0)
	v_lshrrev_b32_e32 v63, 16, v58
	v_fma_f16 v22, v23, v18, v22
	v_mul_f16_sdwa v18, v23, v18 dst_sel:DWORD dst_unused:UNUSED_PAD src0_sel:WORD_1 src1_sel:DWORD
	v_fma_f16 v18, v23, v62, -v18
	v_mul_f16_sdwa v23, v24, v63 dst_sel:DWORD dst_unused:UNUSED_PAD src0_sel:WORD_1 src1_sel:DWORD
	v_mul_f16_sdwa v43, v24, v58 dst_sel:DWORD dst_unused:UNUSED_PAD src0_sel:WORD_1 src1_sel:DWORD
	v_add_f16_e32 v45, v64, v19
	v_fma_f16 v23, v24, v58, v23
	v_fma_f16 v24, v24, v63, -v43
	v_add_f16_e32 v43, v11, v64
	v_fma_f16 v11, v45, -0.5, v11
	v_sub_f16_e32 v45, v14, v15
	v_fma_f16 v58, v45, s2, v11
	v_fma_f16 v11, v45, s3, v11
	v_add_f16_e32 v45, v42, v14
	v_add_f16_e32 v14, v14, v15
	;; [unrolled: 1-line block ×3, first 2 shown]
	v_fma_f16 v14, v14, -0.5, v42
	v_sub_f16_e32 v15, v64, v19
	v_add_f16_e32 v42, v20, v21
	v_lshrrev_b32_e32 v46, 16, v12
	v_add_f16_e32 v43, v43, v19
	v_fma_f16 v19, v15, s3, v14
	v_fma_f16 v14, v15, s2, v14
	v_add_f16_e32 v15, v12, v20
	v_fma_f16 v12, v42, -0.5, v12
	v_sub_f16_e32 v42, v17, v16
	v_fma_f16 v59, v42, s2, v12
	v_fma_f16 v12, v42, s3, v12
	v_add_f16_e32 v42, v46, v17
	v_add_f16_e32 v42, v42, v16
	;; [unrolled: 1-line block ×4, first 2 shown]
	v_fma_f16 v16, v16, -0.5, v46
	v_sub_f16_e32 v17, v20, v21
	v_add_f16_e32 v21, v22, v23
	v_lshrrev_b32_e32 v61, 16, v13
	v_fma_f16 v20, v17, s3, v16
	v_fma_f16 v16, v17, s2, v16
	v_add_f16_e32 v17, v13, v22
	v_fma_f16 v13, v21, -0.5, v13
	v_sub_f16_e32 v21, v18, v24
	v_fma_f16 v46, v21, s2, v13
	v_fma_f16 v13, v21, s3, v13
	v_add_f16_e32 v21, v61, v18
	v_add_f16_e32 v18, v18, v24
	v_fma_f16 v18, v18, -0.5, v61
	v_sub_f16_e32 v22, v22, v23
	v_pack_b32_f16 v11, v11, v14
	v_add_f16_e32 v17, v17, v23
	v_fma_f16 v23, v22, s3, v18
	v_fma_f16 v18, v22, s2, v18
	s_barrier
	v_pack_b32_f16 v22, v43, v45
	v_pack_b32_f16 v19, v58, v19
	ds_write_b32 v69, v11 offset:144
	v_pack_b32_f16 v11, v15, v42
	v_pack_b32_f16 v14, v59, v20
	v_add_f16_e32 v21, v21, v24
	ds_write2_b32 v69, v22, v19 offset1:18
	ds_write2_b32 v70, v11, v14 offset1:18
	v_pack_b32_f16 v11, v12, v16
	ds_write_b32 v70, v11 offset:144
	v_pack_b32_f16 v11, v17, v21
	v_pack_b32_f16 v12, v46, v23
	ds_write2_b32 v72, v11, v12 offset1:18
	v_pack_b32_f16 v11, v13, v18
	ds_write_b32 v72, v11 offset:144
	s_waitcnt lgkmcnt(0)
	s_barrier
	ds_read2_b32 v[11:12], v48 offset1:126
	ds_read2_b32 v[13:14], v47 offset0:124 offset1:250
	ds_read2_b32 v[15:16], v40 offset0:116 offset1:242
	;; [unrolled: 1-line block ×3, first 2 shown]
	ds_read_b32 v23, v48 offset:4032
	s_waitcnt lgkmcnt(4)
	v_lshrrev_b32_e32 v19, 16, v11
	s_waitcnt lgkmcnt(3)
	v_lshrrev_b32_e32 v20, 16, v14
	v_mul_f16_sdwa v47, v31, v20 dst_sel:DWORD dst_unused:UNUSED_PAD src0_sel:WORD_1 src1_sel:DWORD
	s_waitcnt lgkmcnt(2)
	v_lshrrev_b32_e32 v21, 16, v15
	v_fma_f16 v47, v31, v14, v47
	v_mul_f16_sdwa v14, v31, v14 dst_sel:DWORD dst_unused:UNUSED_PAD src0_sel:WORD_1 src1_sel:DWORD
	v_fma_f16 v14, v31, v20, -v14
	v_mul_f16_sdwa v20, v32, v21 dst_sel:DWORD dst_unused:UNUSED_PAD src0_sel:WORD_1 src1_sel:DWORD
	s_waitcnt lgkmcnt(1)
	v_lshrrev_b32_e32 v24, 16, v17
	v_fma_f16 v20, v32, v15, v20
	v_mul_f16_sdwa v15, v32, v15 dst_sel:DWORD dst_unused:UNUSED_PAD src0_sel:WORD_1 src1_sel:DWORD
	v_fma_f16 v15, v32, v21, -v15
	v_mul_f16_sdwa v21, v29, v24 dst_sel:DWORD dst_unused:UNUSED_PAD src0_sel:WORD_1 src1_sel:DWORD
	v_lshrrev_b32_e32 v45, 16, v18
	v_fma_f16 v21, v29, v17, v21
	v_mul_f16_sdwa v17, v29, v17 dst_sel:DWORD dst_unused:UNUSED_PAD src0_sel:WORD_1 src1_sel:DWORD
	v_lshrrev_b32_e32 v42, 16, v16
	v_fma_f16 v17, v29, v24, -v17
	v_mul_f16_sdwa v29, v25, v45 dst_sel:DWORD dst_unused:UNUSED_PAD src0_sel:WORD_1 src1_sel:DWORD
	s_waitcnt lgkmcnt(0)
	v_lshrrev_b32_e32 v46, 16, v23
	v_mul_f16_sdwa v24, v30, v42 dst_sel:DWORD dst_unused:UNUSED_PAD src0_sel:WORD_1 src1_sel:DWORD
	v_fma_f16 v29, v25, v18, v29
	v_mul_f16_sdwa v18, v25, v18 dst_sel:DWORD dst_unused:UNUSED_PAD src0_sel:WORD_1 src1_sel:DWORD
	v_fma_f16 v24, v30, v16, v24
	v_mul_f16_sdwa v16, v30, v16 dst_sel:DWORD dst_unused:UNUSED_PAD src0_sel:WORD_1 src1_sel:DWORD
	v_fma_f16 v18, v25, v45, -v18
	v_mul_f16_sdwa v25, v26, v46 dst_sel:DWORD dst_unused:UNUSED_PAD src0_sel:WORD_1 src1_sel:DWORD
	v_fma_f16 v16, v30, v42, -v16
	v_fma_f16 v25, v26, v23, v25
	v_mul_f16_sdwa v23, v26, v23 dst_sel:DWORD dst_unused:UNUSED_PAD src0_sel:WORD_1 src1_sel:DWORD
	v_add_f16_e32 v30, v47, v20
	v_fma_f16 v23, v26, v46, -v23
	v_add_f16_e32 v26, v11, v47
	v_fma_f16 v11, v30, -0.5, v11
	v_sub_f16_e32 v30, v14, v15
	v_fma_f16 v31, v30, s2, v11
	v_fma_f16 v30, v30, s3, v11
	v_add_f16_e32 v11, v19, v14
	v_add_f16_e32 v32, v11, v15
	v_add_f16_e32 v11, v14, v15
	v_fma_f16 v11, v11, -0.5, v19
	v_sub_f16_e32 v14, v47, v20
	v_fma_f16 v15, v14, s3, v11
	v_fma_f16 v14, v14, s2, v11
	v_add_f16_e32 v11, v12, v21
	v_add_f16_e32 v42, v11, v24
	;; [unrolled: 1-line block ×3, first 2 shown]
	v_lshrrev_b32_e32 v22, 16, v12
	v_fma_f16 v11, v11, -0.5, v12
	v_sub_f16_e32 v12, v17, v16
	v_fma_f16 v45, v12, s2, v11
	v_fma_f16 v46, v12, s3, v11
	v_add_f16_e32 v11, v22, v17
	v_add_f16_e32 v47, v11, v16
	;; [unrolled: 1-line block ×3, first 2 shown]
	v_fma_f16 v11, v11, -0.5, v22
	v_sub_f16_e32 v12, v21, v24
	v_fma_f16 v16, v12, s3, v11
	v_fma_f16 v17, v12, s2, v11
	v_add_f16_e32 v11, v13, v29
	v_add_f16_e32 v21, v11, v25
	;; [unrolled: 1-line block ×3, first 2 shown]
	v_lshrrev_b32_e32 v43, 16, v13
	v_fma_f16 v12, v11, -0.5, v13
	v_sub_f16_e32 v13, v18, v23
	v_fma_f16 v11, v13, s2, v12
	v_fma_f16 v12, v13, s3, v12
	v_add_f16_e32 v13, v43, v18
	v_add_f16_e32 v18, v18, v23
	;; [unrolled: 1-line block ×3, first 2 shown]
	v_fma_f16 v18, v18, -0.5, v43
	v_sub_f16_e32 v20, v29, v25
	v_fma_f16 v19, v20, s3, v18
	v_fma_f16 v20, v20, s2, v18
	v_pack_b32_f16 v18, v26, v32
	v_pack_b32_f16 v15, v31, v15
	;; [unrolled: 1-line block ×3, first 2 shown]
	s_barrier
	ds_write2_b32 v73, v18, v15 offset1:54
	ds_write_b32 v73, v14 offset:432
	v_pack_b32_f16 v14, v42, v47
	v_pack_b32_f16 v15, v45, v16
	v_add_f16_e32 v13, v13, v23
	ds_write2_b32 v74, v14, v15 offset1:54
	v_pack_b32_f16 v14, v46, v17
	ds_write_b32 v74, v14 offset:432
	v_pack_b32_f16 v13, v21, v13
	v_pack_b32_f16 v14, v11, v19
	ds_write2_b32 v75, v13, v14 offset1:54
	v_pack_b32_f16 v13, v12, v20
	v_add_u32_e32 v21, 0x400, v48
	ds_write_b32 v75, v13 offset:432
	s_waitcnt lgkmcnt(0)
	s_barrier
	ds_read2_b32 v[13:14], v48 offset1:162
	ds_read2_b32 v[17:18], v21 offset0:68 offset1:230
	ds_read2_b32 v[15:16], v40 offset0:8 offset1:170
	ds_read_b32 v22, v48 offset:3888
	s_and_saveexec_b64 s[2:3], s[4:5]
	s_cbranch_execz .LBB0_19
; %bb.18:
	v_add_u32_e32 v11, 0x100, v48
	v_add_u32_e32 v19, 0xc00, v48
	ds_read2_b32 v[11:12], v11 offset0:62 offset1:224
	ds_read2_b32 v[36:37], v41 offset0:66 offset1:228
	;; [unrolled: 1-line block ×3, first 2 shown]
	ds_read_b32 v78, v48 offset:4392
	s_waitcnt lgkmcnt(3)
	v_lshrrev_b32_e32 v19, 16, v11
	v_lshrrev_b32_e32 v20, 16, v12
	s_waitcnt lgkmcnt(2)
	v_lshrrev_b32_e32 v44, 16, v36
	v_lshrrev_b32_e32 v76, 16, v37
	;; [unrolled: 3-line block ×3, first 2 shown]
	s_waitcnt lgkmcnt(0)
	v_lshrrev_b32_e32 v79, 16, v78
.LBB0_19:
	s_or_b64 exec, exec, s[2:3]
	s_waitcnt lgkmcnt(3)
	v_lshrrev_b32_e32 v23, 16, v14
	v_mul_f16_sdwa v31, v4, v23 dst_sel:DWORD dst_unused:UNUSED_PAD src0_sel:WORD_1 src1_sel:DWORD
	s_waitcnt lgkmcnt(2)
	v_lshrrev_b32_e32 v24, 16, v17
	v_fma_f16 v31, v4, v14, v31
	v_mul_f16_sdwa v14, v4, v14 dst_sel:DWORD dst_unused:UNUSED_PAD src0_sel:WORD_1 src1_sel:DWORD
	v_fma_f16 v4, v4, v23, -v14
	v_mul_f16_sdwa v14, v5, v24 dst_sel:DWORD dst_unused:UNUSED_PAD src0_sel:WORD_1 src1_sel:DWORD
	v_lshrrev_b32_e32 v25, 16, v18
	v_fma_f16 v14, v5, v17, v14
	v_mul_f16_sdwa v17, v5, v17 dst_sel:DWORD dst_unused:UNUSED_PAD src0_sel:WORD_1 src1_sel:DWORD
	v_fma_f16 v5, v5, v24, -v17
	v_mul_f16_sdwa v17, v6, v25 dst_sel:DWORD dst_unused:UNUSED_PAD src0_sel:WORD_1 src1_sel:DWORD
	s_waitcnt lgkmcnt(1)
	v_lshrrev_b32_e32 v26, 16, v15
	v_fma_f16 v17, v6, v18, v17
	v_mul_f16_sdwa v18, v6, v18 dst_sel:DWORD dst_unused:UNUSED_PAD src0_sel:WORD_1 src1_sel:DWORD
	v_fma_f16 v6, v6, v25, -v18
	v_mul_f16_sdwa v18, v7, v26 dst_sel:DWORD dst_unused:UNUSED_PAD src0_sel:WORD_1 src1_sel:DWORD
	v_lshrrev_b32_e32 v29, 16, v16
	s_waitcnt lgkmcnt(0)
	v_lshrrev_b32_e32 v30, 16, v22
	v_fma_f16 v18, v7, v15, v18
	v_mul_f16_sdwa v15, v7, v15 dst_sel:DWORD dst_unused:UNUSED_PAD src0_sel:WORD_1 src1_sel:DWORD
	v_fma_f16 v7, v7, v26, -v15
	v_mul_f16_sdwa v15, v34, v29 dst_sel:DWORD dst_unused:UNUSED_PAD src0_sel:WORD_1 src1_sel:DWORD
	v_mul_f16_sdwa v23, v35, v30 dst_sel:DWORD dst_unused:UNUSED_PAD src0_sel:WORD_1 src1_sel:DWORD
	v_fma_f16 v15, v34, v16, v15
	v_mul_f16_sdwa v16, v34, v16 dst_sel:DWORD dst_unused:UNUSED_PAD src0_sel:WORD_1 src1_sel:DWORD
	v_fma_f16 v23, v35, v22, v23
	v_mul_f16_sdwa v22, v35, v22 dst_sel:DWORD dst_unused:UNUSED_PAD src0_sel:WORD_1 src1_sel:DWORD
	v_fma_f16 v16, v34, v29, -v16
	v_fma_f16 v22, v35, v30, -v22
	v_add_f16_e32 v24, v31, v23
	v_add_f16_e32 v25, v4, v22
	v_sub_f16_e32 v4, v4, v22
	v_add_f16_e32 v22, v14, v15
	v_add_f16_e32 v26, v5, v16
	v_sub_f16_e32 v23, v31, v23
	v_sub_f16_e32 v14, v14, v15
	;; [unrolled: 1-line block ×3, first 2 shown]
	v_add_f16_e32 v15, v17, v18
	v_add_f16_e32 v16, v6, v7
	v_sub_f16_e32 v17, v18, v17
	v_sub_f16_e32 v6, v7, v6
	v_add_f16_e32 v7, v22, v24
	v_add_f16_e32 v18, v26, v25
	v_sub_f16_e32 v29, v22, v24
	v_sub_f16_e32 v30, v26, v25
	;; [unrolled: 1-line block ×6, first 2 shown]
	v_add_f16_e32 v31, v17, v14
	v_add_f16_e32 v32, v6, v5
	v_sub_f16_e32 v34, v17, v14
	v_sub_f16_e32 v35, v6, v5
	;; [unrolled: 1-line block ×4, first 2 shown]
	v_add_f16_e32 v7, v15, v7
	v_add_f16_e32 v15, v16, v18
	v_sub_f16_e32 v17, v23, v17
	v_sub_f16_e32 v6, v4, v6
	v_add_f16_e32 v16, v31, v23
	v_add_f16_e32 v4, v32, v4
	v_add_f16_e32 v18, v13, v7
	v_add_f16_sdwa v13, v13, v15 dst_sel:DWORD dst_unused:UNUSED_PAD src0_sel:WORD_1 src1_sel:DWORD
	v_mul_f16_e32 v23, 0x3a52, v24
	v_mul_f16_e32 v24, 0x3a52, v25
	s_movk_i32 s17, 0x2b26
	v_mul_f16_e32 v25, 0x2b26, v22
	v_mul_f16_e32 v31, 0x2b26, v26
	;; [unrolled: 1-line block ×4, first 2 shown]
	s_mov_b32 s12, 0xbb00
	v_mul_f16_e32 v35, 0xbb00, v14
	v_mul_f16_e32 v41, 0xbb00, v5
	s_mov_b32 s18, 0xbcab
	s_movk_i32 s13, 0x39e0
	s_mov_b32 s14, 0xb9e0
	s_movk_i32 s15, 0x3574
	v_fma_f16 v7, v7, s18, v18
	v_fma_f16 v15, v15, s18, v13
	;; [unrolled: 1-line block ×4, first 2 shown]
	v_fma_f16 v25, v29, s13, -v25
	v_fma_f16 v31, v30, s13, -v31
	;; [unrolled: 1-line block ×4, first 2 shown]
	v_fma_f16 v29, v17, s19, v32
	v_fma_f16 v30, v6, s19, v34
	v_fma_f16 v14, v14, s12, -v32
	v_fma_f16 v5, v5, s12, -v34
	;; [unrolled: 1-line block ×4, first 2 shown]
	s_mov_b32 s16, 0xb70e
	v_add_f16_e32 v22, v22, v7
	v_add_f16_e32 v26, v26, v15
	;; [unrolled: 1-line block ×6, first 2 shown]
	v_fma_f16 v23, v16, s16, v29
	v_fma_f16 v24, v4, s16, v30
	;; [unrolled: 1-line block ×6, first 2 shown]
	v_add_f16_e32 v6, v24, v22
	v_sub_f16_e32 v17, v26, v23
	v_add_f16_e32 v29, v4, v7
	v_sub_f16_e32 v32, v25, v5
	v_add_f16_e32 v34, v14, v31
	v_add_f16_e32 v5, v5, v25
	v_sub_f16_e32 v14, v31, v14
	v_sub_f16_e32 v4, v7, v4
	v_add_f16_e32 v7, v16, v15
	v_sub_f16_e32 v30, v15, v16
	v_sub_f16_e32 v15, v22, v24
	v_add_f16_e32 v16, v23, v26
	v_pack_b32_f16 v13, v18, v13
	v_pack_b32_f16 v6, v6, v17
	;; [unrolled: 1-line block ×4, first 2 shown]
	ds_write2_b32 v48, v13, v6 offset1:162
	v_pack_b32_f16 v6, v29, v30
	v_pack_b32_f16 v13, v32, v34
	ds_write2_b32 v40, v5, v4 offset0:8 offset1:170
	v_pack_b32_f16 v4, v15, v16
	ds_write2_b32 v21, v6, v13 offset0:68 offset1:230
	ds_write_b32 v48, v4 offset:3888
	s_and_saveexec_b64 s[2:3], s[4:5]
	s_cbranch_execz .LBB0_21
; %bb.20:
	v_mul_f16_sdwa v4, v0, v20 dst_sel:DWORD dst_unused:UNUSED_PAD src0_sel:WORD_1 src1_sel:DWORD
	v_fma_f16 v4, v0, v12, v4
	v_mul_f16_sdwa v12, v0, v12 dst_sel:DWORD dst_unused:UNUSED_PAD src0_sel:WORD_1 src1_sel:DWORD
	v_mul_f16_sdwa v13, v2, v76 dst_sel:DWORD dst_unused:UNUSED_PAD src0_sel:WORD_1 src1_sel:DWORD
	v_fma_f16 v0, v0, v20, -v12
	v_mul_f16_sdwa v20, v2, v37 dst_sel:DWORD dst_unused:UNUSED_PAD src0_sel:WORD_1 src1_sel:DWORD
	v_mul_f16_sdwa v7, v3, v77 dst_sel:DWORD dst_unused:UNUSED_PAD src0_sel:WORD_1 src1_sel:DWORD
	v_fma_f16 v13, v2, v37, v13
	v_mul_f16_sdwa v16, v1, v44 dst_sel:DWORD dst_unused:UNUSED_PAD src0_sel:WORD_1 src1_sel:DWORD
	v_mul_f16_sdwa v23, v28, v78 dst_sel:DWORD dst_unused:UNUSED_PAD src0_sel:WORD_1 src1_sel:DWORD
	v_fma_f16 v2, v2, v76, -v20
	v_mul_f16_sdwa v20, v3, v38 dst_sel:DWORD dst_unused:UNUSED_PAD src0_sel:WORD_1 src1_sel:DWORD
	v_mul_f16_sdwa v25, v27, v39 dst_sel:DWORD dst_unused:UNUSED_PAD src0_sel:WORD_1 src1_sel:DWORD
	;; [unrolled: 1-line block ×4, first 2 shown]
	v_fma_f16 v7, v3, v38, v7
	v_fma_f16 v16, v1, v36, v16
	v_mul_f16_sdwa v17, v27, v33 dst_sel:DWORD dst_unused:UNUSED_PAD src0_sel:WORD_1 src1_sel:DWORD
	v_fma_f16 v23, v28, v79, -v23
	v_fma_f16 v3, v3, v77, -v20
	;; [unrolled: 1-line block ×4, first 2 shown]
	v_fma_f16 v5, v28, v78, v5
	v_fma_f16 v17, v27, v39, v17
	v_add_f16_e32 v12, v23, v0
	v_add_f16_e32 v20, v2, v3
	;; [unrolled: 1-line block ×3, first 2 shown]
	v_sub_f16_e32 v0, v0, v23
	v_sub_f16_e32 v2, v3, v2
	;; [unrolled: 1-line block ×6, first 2 shown]
	v_add_f16_e32 v4, v5, v4
	v_add_f16_e32 v5, v13, v7
	;; [unrolled: 1-line block ×3, first 2 shown]
	v_sub_f16_e32 v3, v0, v2
	v_sub_f16_e32 v23, v2, v1
	v_add_f16_e32 v2, v2, v1
	v_sub_f16_e32 v15, v6, v14
	v_sub_f16_e32 v21, v14, v18
	v_add_f16_e32 v14, v14, v18
	v_add_f16_e32 v29, v26, v12
	;; [unrolled: 1-line block ×4, first 2 shown]
	v_sub_f16_e32 v0, v1, v0
	v_add_f16_e32 v14, v14, v6
	v_sub_f16_e32 v24, v12, v20
	v_sub_f16_e32 v27, v20, v26
	v_add_f16_e32 v20, v20, v29
	v_sub_f16_e32 v7, v4, v5
	v_sub_f16_e32 v16, v5, v13
	v_add_f16_e32 v5, v5, v30
	v_mul_f16_e32 v23, 0x3846, v23
	v_sub_f16_e32 v6, v18, v6
	v_mul_f16_e32 v1, 0xbb00, v0
	v_mul_f16_e32 v21, 0x3846, v21
	v_mul_f16_e32 v24, 0x3a52, v24
	v_mul_f16_e32 v28, 0x2b26, v27
	v_add_f16_e32 v19, v19, v20
	v_mul_f16_e32 v7, 0x3a52, v7
	v_mul_f16_e32 v17, 0x2b26, v16
	v_add_f16_e32 v11, v11, v5
	v_fma_f16 v25, v3, s19, v23
	v_mul_f16_e32 v18, 0xbb00, v6
	v_sub_f16_e32 v12, v26, v12
	v_sub_f16_e32 v4, v13, v4
	v_fma_f16 v1, v3, s15, -v1
	v_fma_f16 v0, v0, s12, -v23
	v_fma_f16 v22, v15, s19, v21
	v_fma_f16 v27, v27, s17, v24
	;; [unrolled: 1-line block ×6, first 2 shown]
	v_fma_f16 v15, v15, s15, -v18
	v_fma_f16 v18, v12, s14, -v24
	;; [unrolled: 1-line block ×3, first 2 shown]
	v_fma_f16 v1, v2, s16, v1
	v_fma_f16 v12, v12, s13, -v28
	v_fma_f16 v6, v6, s12, -v21
	v_fma_f16 v0, v2, s16, v0
	v_fma_f16 v2, v4, s13, -v17
	v_fma_f16 v22, v14, s16, v22
	v_add_f16_e32 v27, v27, v20
	v_add_f16_e32 v16, v16, v5
	v_fma_f16 v15, v14, s16, v15
	v_add_f16_e32 v18, v18, v20
	v_add_f16_e32 v7, v7, v5
	;; [unrolled: 1-line block ×3, first 2 shown]
	v_fma_f16 v6, v14, s16, v6
	v_add_f16_e32 v2, v2, v5
	v_sub_f16_e32 v3, v7, v1
	v_sub_f16_e32 v13, v12, v6
	v_add_f16_e32 v4, v0, v2
	v_add_f16_e32 v5, v6, v12
	v_sub_f16_e32 v0, v2, v0
	v_sub_f16_e32 v2, v18, v15
	v_add_f16_e32 v1, v1, v7
	v_sub_f16_e32 v6, v27, v22
	v_add_f16_e32 v7, v25, v16
	v_add_f16_e32 v24, v15, v18
	v_pack_b32_f16 v11, v11, v19
	v_pack_b32_f16 v6, v7, v6
	v_add_u32_e32 v7, 0x100, v48
	v_pack_b32_f16 v1, v1, v2
	v_pack_b32_f16 v0, v0, v5
	v_add_u32_e32 v2, 0x600, v48
	v_add_f16_e32 v29, v22, v27
	v_sub_f16_e32 v30, v16, v25
	ds_write2_b32 v7, v11, v6 offset0:62 offset1:224
	ds_write2_b32 v2, v1, v0 offset0:66 offset1:228
	v_pack_b32_f16 v0, v4, v13
	v_pack_b32_f16 v1, v3, v24
	v_add_u32_e32 v2, 0xc00, v48
	ds_write2_b32 v2, v0, v1 offset0:6 offset1:168
	v_pack_b32_f16 v0, v30, v29
	ds_write_b32 v48, v0 offset:4392
.LBB0_21:
	s_or_b64 exec, exec, s[2:3]
	s_waitcnt lgkmcnt(0)
	s_barrier
	ds_read2_b32 v[2:3], v48 offset1:126
	s_mov_b32 s12, 0x8eac7900
	s_mov_b32 s13, 0x3f4ce55c
	v_mad_u64_u32 v[4:5], s[2:3], s10, v10, 0
	s_waitcnt lgkmcnt(0)
	v_lshrrev_b32_e32 v7, 16, v2
	v_mul_f16_sdwa v0, v57, v7 dst_sel:DWORD dst_unused:UNUSED_PAD src0_sel:WORD_1 src1_sel:DWORD
	v_fma_f16 v0, v57, v2, v0
	v_cvt_f32_f16_e32 v0, v0
	s_movk_i32 s10, 0x1ff
	v_mad_u64_u32 v[5:6], s[2:3], s11, v10, v[5:6]
	v_cvt_f64_f32_e32 v[0:1], v0
	s_movk_i32 s11, 0xffe
	v_mul_f16_sdwa v2, v57, v2 dst_sel:DWORD dst_unused:UNUSED_PAD src0_sel:WORD_1 src1_sel:DWORD
	v_fma_f16 v2, v57, v7, -v2
	v_mul_f64 v[0:1], v[0:1], s[12:13]
	v_cvt_f32_f16_e32 v7, v2
	v_mov_b32_e32 v2, 0x7c00
	s_movk_i32 s14, 0x40f
	s_mov_b32 s15, 0x8000
	v_lshlrev_b64 v[4:5], 2, v[4:5]
	s_movk_i32 s16, 0x1000
	v_and_or_b32 v0, v1, s10, v0
	v_cmp_ne_u32_e32 vcc, 0, v0
	v_lshrrev_b32_e32 v6, 8, v1
	v_bfe_u32 v10, v1, 20, 11
	v_cndmask_b32_e64 v0, 0, 1, vcc
	v_and_or_b32 v0, v6, s11, v0
	v_sub_u32_e32 v11, 0x3f1, v10
	v_or_b32_e32 v6, 0x1000, v0
	v_med3_i32 v11, v11, 0, 13
	v_lshrrev_b32_e32 v12, v11, v6
	v_lshlrev_b32_e32 v11, v11, v12
	v_cmp_ne_u32_e32 vcc, v11, v6
	v_cndmask_b32_e64 v6, 0, 1, vcc
	v_add_u32_e32 v10, 0xfffffc10, v10
	v_or_b32_e32 v6, v12, v6
	v_lshl_or_b32 v11, v10, 12, v0
	v_cmp_gt_i32_e32 vcc, 1, v10
	v_cndmask_b32_e32 v6, v11, v6, vcc
	v_and_b32_e32 v11, 7, v6
	v_cmp_lt_i32_e32 vcc, 5, v11
	v_cmp_eq_u32_e64 s[2:3], 3, v11
	v_lshrrev_b32_e32 v6, 2, v6
	s_or_b64 vcc, s[2:3], vcc
	v_addc_co_u32_e32 v11, vcc, 0, v6, vcc
	v_cvt_f64_f32_e32 v[6:7], v7
	v_cmp_gt_i32_e32 vcc, 31, v10
	v_cndmask_b32_e32 v11, v2, v11, vcc
	v_cmp_ne_u32_e32 vcc, 0, v0
	v_mul_f64 v[6:7], v[6:7], s[12:13]
	v_cndmask_b32_e64 v0, 0, 1, vcc
	v_lshl_or_b32 v0, v0, 9, v2
	v_cmp_eq_u32_e32 vcc, s14, v10
	v_cndmask_b32_e32 v0, v11, v0, vcc
	v_lshrrev_b32_e32 v1, 16, v1
	v_and_or_b32 v12, v1, s15, v0
	v_and_b32_e32 v12, 0xffff, v12
	v_and_or_b32 v0, v7, s10, v6
	v_cmp_ne_u32_e32 vcc, 0, v0
	v_cndmask_b32_e64 v0, 0, 1, vcc
	v_lshrrev_b32_e32 v1, 8, v7
	v_bfe_u32 v6, v7, 20, 11
	v_and_or_b32 v0, v1, s11, v0
	v_sub_u32_e32 v10, 0x3f1, v6
	v_or_b32_e32 v1, 0x1000, v0
	v_med3_i32 v10, v10, 0, 13
	v_lshrrev_b32_e32 v11, v10, v1
	v_lshlrev_b32_e32 v10, v10, v11
	v_cmp_ne_u32_e32 vcc, v10, v1
	v_cndmask_b32_e64 v1, 0, 1, vcc
	v_add_u32_e32 v6, 0xfffffc10, v6
	v_or_b32_e32 v1, v11, v1
	v_lshl_or_b32 v10, v6, 12, v0
	v_cmp_gt_i32_e32 vcc, 1, v6
	v_cndmask_b32_e32 v1, v10, v1, vcc
	v_and_b32_e32 v10, 7, v1
	v_cmp_lt_i32_e32 vcc, 5, v10
	v_cmp_eq_u32_e64 s[2:3], 3, v10
	v_lshrrev_b32_e32 v1, 2, v1
	s_or_b64 vcc, s[2:3], vcc
	v_addc_co_u32_e32 v1, vcc, 0, v1, vcc
	v_cmp_gt_i32_e32 vcc, 31, v6
	v_cndmask_b32_e32 v1, v2, v1, vcc
	v_cmp_ne_u32_e32 vcc, 0, v0
	v_cndmask_b32_e64 v0, 0, 1, vcc
	v_cmp_eq_u32_e32 vcc, s14, v6
	v_add_u32_e32 v6, 0x800, v48
	ds_read2_b32 v[10:11], v6 offset0:55 offset1:181
	v_lshl_or_b32 v0, v0, 9, v2
	v_cndmask_b32_e32 v13, v1, v0, vcc
	v_mad_u64_u32 v[0:1], s[2:3], s8, v55, 0
	s_waitcnt lgkmcnt(0)
	v_lshrrev_b32_e32 v15, 16, v10
	v_lshrrev_b32_e32 v14, 16, v7
	v_mad_u64_u32 v[6:7], s[2:3], s9, v55, v[1:2]
	v_mul_f16_sdwa v1, v56, v15 dst_sel:DWORD dst_unused:UNUSED_PAD src0_sel:WORD_1 src1_sel:DWORD
	v_fma_f16 v1, v56, v10, v1
	v_cvt_f32_f16_e32 v7, v1
	v_mov_b32_e32 v1, v6
	v_and_or_b32 v13, v14, s15, v13
	v_lshl_or_b32 v12, v13, 16, v12
	v_cvt_f64_f32_e32 v[6:7], v7
	v_mov_b32_e32 v13, s7
	v_add_co_u32_e32 v4, vcc, s6, v4
	v_mul_f64 v[6:7], v[6:7], s[12:13]
	v_lshlrev_b64 v[0:1], 2, v[0:1]
	v_addc_co_u32_e32 v5, vcc, v13, v5, vcc
	v_add_co_u32_e32 v4, vcc, v4, v0
	v_addc_co_u32_e32 v5, vcc, v5, v1, vcc
	v_and_or_b32 v0, v7, s10, v6
	v_cmp_ne_u32_e32 vcc, 0, v0
	v_cndmask_b32_e64 v0, 0, 1, vcc
	v_lshrrev_b32_e32 v1, 8, v7
	v_and_or_b32 v6, v1, s11, v0
	v_bfe_u32 v1, v7, 20, 11
	global_store_dword v[4:5], v12, off
	v_sub_u32_e32 v12, 0x3f1, v1
	v_or_b32_e32 v0, 0x1000, v6
	v_med3_i32 v12, v12, 0, 13
	v_lshrrev_b32_e32 v13, v12, v0
	v_lshlrev_b32_e32 v12, v12, v13
	v_mul_f16_sdwa v10, v56, v10 dst_sel:DWORD dst_unused:UNUSED_PAD src0_sel:WORD_1 src1_sel:DWORD
	v_cmp_ne_u32_e32 vcc, v12, v0
	v_fma_f16 v10, v56, v15, -v10
	v_cndmask_b32_e64 v0, 0, 1, vcc
	v_add_u32_e32 v12, 0xfffffc10, v1
	v_cvt_f32_f16_e32 v10, v10
	v_or_b32_e32 v0, v13, v0
	v_lshl_or_b32 v1, v12, 12, v6
	v_cmp_gt_i32_e32 vcc, 1, v12
	v_cndmask_b32_e32 v0, v1, v0, vcc
	v_and_b32_e32 v1, 7, v0
	v_cmp_lt_i32_e32 vcc, 5, v1
	v_cmp_eq_u32_e64 s[2:3], 3, v1
	v_lshrrev_b32_e32 v13, 2, v0
	v_cvt_f64_f32_e32 v[0:1], v10
	s_or_b64 vcc, s[2:3], vcc
	v_addc_co_u32_e32 v10, vcc, 0, v13, vcc
	v_mul_f64 v[0:1], v[0:1], s[12:13]
	v_cmp_gt_i32_e32 vcc, 31, v12
	v_cndmask_b32_e32 v10, v2, v10, vcc
	v_cmp_ne_u32_e32 vcc, 0, v6
	v_cndmask_b32_e64 v6, 0, 1, vcc
	v_lshl_or_b32 v6, v6, 9, v2
	v_cmp_eq_u32_e32 vcc, s14, v12
	v_cndmask_b32_e32 v6, v10, v6, vcc
	v_and_or_b32 v0, v1, s10, v0
	v_lshrrev_b32_e32 v7, 16, v7
	v_cmp_ne_u32_e32 vcc, 0, v0
	v_and_or_b32 v6, v7, s15, v6
	v_cndmask_b32_e64 v0, 0, 1, vcc
	v_lshrrev_b32_e32 v7, 8, v1
	v_bfe_u32 v10, v1, 20, 11
	v_and_or_b32 v0, v7, s11, v0
	v_sub_u32_e32 v12, 0x3f1, v10
	v_or_b32_e32 v7, 0x1000, v0
	v_med3_i32 v12, v12, 0, 13
	v_lshrrev_b32_e32 v13, v12, v7
	v_lshlrev_b32_e32 v12, v12, v13
	v_cmp_ne_u32_e32 vcc, v12, v7
	v_cndmask_b32_e64 v7, 0, 1, vcc
	v_add_u32_e32 v10, 0xfffffc10, v10
	v_or_b32_e32 v7, v13, v7
	v_lshl_or_b32 v12, v10, 12, v0
	v_cmp_gt_i32_e32 vcc, 1, v10
	v_cndmask_b32_e32 v7, v12, v7, vcc
	v_and_b32_e32 v12, 7, v7
	v_cmp_lt_i32_e32 vcc, 5, v12
	v_cmp_eq_u32_e64 s[2:3], 3, v12
	v_lshrrev_b32_e32 v7, 2, v7
	s_or_b64 vcc, s[2:3], vcc
	v_addc_co_u32_e32 v7, vcc, 0, v7, vcc
	v_cmp_gt_i32_e32 vcc, 31, v10
	v_cndmask_b32_e32 v7, v2, v7, vcc
	v_cmp_ne_u32_e32 vcc, 0, v0
	v_cndmask_b32_e64 v0, 0, 1, vcc
	v_lshl_or_b32 v0, v0, 9, v2
	v_cmp_eq_u32_e32 vcc, s14, v10
	v_cndmask_b32_e32 v0, v7, v0, vcc
	v_lshrrev_b32_e32 v1, 16, v1
	v_lshrrev_b32_e32 v10, 16, v3
	v_and_or_b32 v7, v1, s15, v0
	v_mul_f16_sdwa v0, v54, v10 dst_sel:DWORD dst_unused:UNUSED_PAD src0_sel:WORD_1 src1_sel:DWORD
	v_fma_f16 v0, v54, v3, v0
	v_cvt_f32_f16_e32 v0, v0
	v_and_b32_e32 v6, 0xffff, v6
	v_lshl_or_b32 v12, v7, 16, v6
	s_mul_i32 s2, s9, 0x237
	v_cvt_f64_f32_e32 v[0:1], v0
	s_mul_hi_u32 s3, s8, 0x237
	s_add_i32 s3, s3, s2
	s_mul_i32 s2, s8, 0x237
	v_mul_f64 v[6:7], v[0:1], s[12:13]
	s_lshl_b64 s[6:7], s[2:3], 2
	v_mov_b32_e32 v1, s7
	v_add_co_u32_e32 v4, vcc, s6, v4
	v_addc_co_u32_e32 v5, vcc, v5, v1, vcc
	global_store_dword v[4:5], v12, off
	v_and_or_b32 v0, v7, s10, v6
	v_cmp_ne_u32_e32 vcc, 0, v0
	v_cndmask_b32_e64 v0, 0, 1, vcc
	v_lshrrev_b32_e32 v6, 8, v7
	v_bfe_u32 v12, v7, 20, 11
	v_and_or_b32 v0, v6, s11, v0
	v_sub_u32_e32 v13, 0x3f1, v12
	v_or_b32_e32 v6, 0x1000, v0
	v_med3_i32 v13, v13, 0, 13
	v_lshrrev_b32_e32 v14, v13, v6
	v_lshlrev_b32_e32 v13, v13, v14
	v_cmp_ne_u32_e32 vcc, v13, v6
	v_mul_f16_sdwa v3, v54, v3 dst_sel:DWORD dst_unused:UNUSED_PAD src0_sel:WORD_1 src1_sel:DWORD
	v_cndmask_b32_e64 v6, 0, 1, vcc
	v_fma_f16 v3, v54, v10, -v3
	v_or_b32_e32 v6, v14, v6
	v_add_u32_e32 v14, 0xfffffc10, v12
	v_cvt_f32_f16_e32 v3, v3
	v_lshl_or_b32 v12, v14, 12, v0
	v_cmp_gt_i32_e32 vcc, 1, v14
	v_cndmask_b32_e32 v6, v12, v6, vcc
	v_and_b32_e32 v12, 7, v6
	v_cmp_lt_i32_e32 vcc, 5, v12
	v_cmp_eq_u32_e64 s[2:3], 3, v12
	v_cvt_f64_f32_e32 v[12:13], v3
	v_lshrrev_b32_e32 v6, 2, v6
	s_or_b64 vcc, s[2:3], vcc
	v_addc_co_u32_e32 v3, vcc, 0, v6, vcc
	v_mul_f64 v[12:13], v[12:13], s[12:13]
	v_cmp_gt_i32_e32 vcc, 31, v14
	v_cndmask_b32_e32 v3, v2, v3, vcc
	v_cmp_ne_u32_e32 vcc, 0, v0
	v_cndmask_b32_e64 v0, 0, 1, vcc
	v_lshl_or_b32 v0, v0, 9, v2
	v_cmp_eq_u32_e32 vcc, s14, v14
	v_cndmask_b32_e32 v0, v3, v0, vcc
	v_lshrrev_b32_e32 v3, 16, v7
	v_and_or_b32 v0, v3, s15, v0
	v_and_or_b32 v3, v13, s10, v12
	v_cmp_ne_u32_e32 vcc, 0, v3
	v_cndmask_b32_e64 v3, 0, 1, vcc
	v_lshrrev_b32_e32 v6, 8, v13
	v_bfe_u32 v7, v13, 20, 11
	v_and_or_b32 v3, v6, s11, v3
	v_sub_u32_e32 v10, 0x3f1, v7
	v_or_b32_e32 v6, 0x1000, v3
	v_med3_i32 v10, v10, 0, 13
	v_lshrrev_b32_e32 v12, v10, v6
	v_lshlrev_b32_e32 v10, v10, v12
	v_cmp_ne_u32_e32 vcc, v10, v6
	v_cndmask_b32_e64 v6, 0, 1, vcc
	v_add_u32_e32 v7, 0xfffffc10, v7
	v_or_b32_e32 v6, v12, v6
	v_lshl_or_b32 v10, v7, 12, v3
	v_cmp_gt_i32_e32 vcc, 1, v7
	v_cndmask_b32_e32 v6, v10, v6, vcc
	v_and_b32_e32 v10, 7, v6
	v_cmp_lt_i32_e32 vcc, 5, v10
	v_cmp_eq_u32_e64 s[2:3], 3, v10
	v_lshrrev_b32_e32 v6, 2, v6
	s_or_b64 vcc, s[2:3], vcc
	v_addc_co_u32_e32 v6, vcc, 0, v6, vcc
	v_cmp_gt_i32_e32 vcc, 31, v7
	v_cndmask_b32_e32 v6, v2, v6, vcc
	v_cmp_ne_u32_e32 vcc, 0, v3
	v_cndmask_b32_e64 v3, 0, 1, vcc
	v_lshl_or_b32 v3, v3, 9, v2
	v_cmp_eq_u32_e32 vcc, s14, v7
	v_cndmask_b32_e32 v3, v6, v3, vcc
	v_lshrrev_b32_e32 v6, 16, v13
	v_lshrrev_b32_e32 v10, 16, v11
	v_and_or_b32 v3, v6, s15, v3
	v_mul_f16_sdwa v6, v53, v10 dst_sel:DWORD dst_unused:UNUSED_PAD src0_sel:WORD_1 src1_sel:DWORD
	v_fma_f16 v6, v53, v11, v6
	v_cvt_f32_f16_e32 v6, v6
	s_mul_hi_u32 s3, s8, 0xfffffe47
	s_mul_i32 s2, s9, 0xfffffe47
	s_sub_i32 s3, s3, s8
	v_cvt_f64_f32_e32 v[6:7], v6
	s_add_i32 s3, s3, s2
	s_mul_i32 s2, s8, 0xfffffe47
	v_and_b32_e32 v0, 0xffff, v0
	v_mul_f64 v[6:7], v[6:7], s[12:13]
	s_lshl_b64 s[4:5], s[2:3], 2
	v_lshl_or_b32 v0, v3, 16, v0
	v_mov_b32_e32 v16, s5
	v_add_co_u32_e32 v3, vcc, s4, v4
	v_addc_co_u32_e32 v4, vcc, v5, v16, vcc
	global_store_dword v[3:4], v0, off
	v_and_or_b32 v0, v7, s10, v6
	v_cmp_ne_u32_e32 vcc, 0, v0
	v_cndmask_b32_e64 v0, 0, 1, vcc
	v_lshrrev_b32_e32 v5, 8, v7
	v_bfe_u32 v6, v7, 20, 11
	v_and_or_b32 v0, v5, s11, v0
	v_sub_u32_e32 v12, 0x3f1, v6
	v_or_b32_e32 v5, 0x1000, v0
	v_med3_i32 v12, v12, 0, 13
	v_lshrrev_b32_e32 v13, v12, v5
	v_lshlrev_b32_e32 v12, v12, v13
	v_mul_f16_sdwa v11, v53, v11 dst_sel:DWORD dst_unused:UNUSED_PAD src0_sel:WORD_1 src1_sel:DWORD
	v_cmp_ne_u32_e32 vcc, v12, v5
	v_fma_f16 v10, v53, v10, -v11
	v_cndmask_b32_e64 v5, 0, 1, vcc
	v_add_u32_e32 v12, 0xfffffc10, v6
	v_cvt_f32_f16_e32 v10, v10
	v_or_b32_e32 v5, v13, v5
	v_lshl_or_b32 v6, v12, 12, v0
	v_cmp_gt_i32_e32 vcc, 1, v12
	v_cndmask_b32_e32 v5, v6, v5, vcc
	v_and_b32_e32 v6, 7, v5
	v_cmp_lt_i32_e32 vcc, 5, v6
	v_cmp_eq_u32_e64 s[2:3], 3, v6
	v_lshrrev_b32_e32 v11, 2, v5
	v_cvt_f64_f32_e32 v[5:6], v10
	s_or_b64 vcc, s[2:3], vcc
	v_addc_co_u32_e32 v10, vcc, 0, v11, vcc
	v_mul_f64 v[5:6], v[5:6], s[12:13]
	v_cmp_gt_i32_e32 vcc, 31, v12
	v_cndmask_b32_e32 v10, v2, v10, vcc
	v_cmp_ne_u32_e32 vcc, 0, v0
	v_cndmask_b32_e64 v0, 0, 1, vcc
	v_lshl_or_b32 v0, v0, 9, v2
	v_cmp_eq_u32_e32 vcc, s14, v12
	v_cndmask_b32_e32 v0, v10, v0, vcc
	v_and_or_b32 v5, v6, s10, v5
	v_lshrrev_b32_e32 v7, 16, v7
	v_cmp_ne_u32_e32 vcc, 0, v5
	v_and_or_b32 v0, v7, s15, v0
	v_cndmask_b32_e64 v5, 0, 1, vcc
	v_lshrrev_b32_e32 v7, 8, v6
	v_bfe_u32 v10, v6, 20, 11
	v_and_or_b32 v5, v7, s11, v5
	v_sub_u32_e32 v11, 0x3f1, v10
	v_or_b32_e32 v7, 0x1000, v5
	v_med3_i32 v11, v11, 0, 13
	v_lshrrev_b32_e32 v12, v11, v7
	v_lshlrev_b32_e32 v11, v11, v12
	v_cmp_ne_u32_e32 vcc, v11, v7
	v_cndmask_b32_e64 v7, 0, 1, vcc
	v_add_u32_e32 v14, 0xfffffc10, v10
	v_or_b32_e32 v7, v12, v7
	v_lshl_or_b32 v10, v14, 12, v5
	v_cmp_gt_i32_e32 vcc, 1, v14
	v_cndmask_b32_e32 v7, v10, v7, vcc
	v_and_b32_e32 v10, 7, v7
	v_cmp_lt_i32_e32 vcc, 5, v10
	v_cmp_eq_u32_e64 s[2:3], 3, v10
	v_add_u32_e32 v10, 0x200, v48
	ds_read2_b32 v[10:11], v10 offset0:124 offset1:250
	v_lshrrev_b32_e32 v7, 2, v7
	s_or_b64 vcc, s[2:3], vcc
	v_addc_co_u32_e32 v7, vcc, 0, v7, vcc
	s_waitcnt lgkmcnt(0)
	v_lshrrev_b32_e32 v15, 16, v10
	v_mul_f16_sdwa v12, v52, v15 dst_sel:DWORD dst_unused:UNUSED_PAD src0_sel:WORD_1 src1_sel:DWORD
	v_fma_f16 v12, v52, v10, v12
	v_cvt_f32_f16_e32 v12, v12
	v_cmp_gt_i32_e32 vcc, 31, v14
	v_cndmask_b32_e32 v7, v2, v7, vcc
	v_cmp_ne_u32_e32 vcc, 0, v5
	v_cvt_f64_f32_e32 v[12:13], v12
	v_cndmask_b32_e64 v5, 0, 1, vcc
	v_lshl_or_b32 v5, v5, 9, v2
	v_cmp_eq_u32_e32 vcc, s14, v14
	v_cndmask_b32_e32 v5, v7, v5, vcc
	v_lshrrev_b32_e32 v6, 16, v6
	v_and_or_b32 v7, v6, s15, v5
	v_mul_f64 v[5:6], v[12:13], s[12:13]
	v_and_b32_e32 v0, 0xffff, v0
	v_add_co_u32_e32 v3, vcc, s6, v3
	v_lshl_or_b32 v0, v7, 16, v0
	v_addc_co_u32_e32 v4, vcc, v4, v1, vcc
	global_store_dword v[3:4], v0, off
	v_and_or_b32 v0, v6, s10, v5
	v_cmp_ne_u32_e32 vcc, 0, v0
	v_cndmask_b32_e64 v0, 0, 1, vcc
	v_lshrrev_b32_e32 v5, 8, v6
	v_bfe_u32 v7, v6, 20, 11
	v_and_or_b32 v0, v5, s11, v0
	v_sub_u32_e32 v12, 0x3f1, v7
	v_or_b32_e32 v5, 0x1000, v0
	v_med3_i32 v12, v12, 0, 13
	v_lshrrev_b32_e32 v13, v12, v5
	v_lshlrev_b32_e32 v12, v12, v13
	v_mul_f16_sdwa v10, v52, v10 dst_sel:DWORD dst_unused:UNUSED_PAD src0_sel:WORD_1 src1_sel:DWORD
	v_cmp_ne_u32_e32 vcc, v12, v5
	v_fma_f16 v10, v52, v15, -v10
	v_cndmask_b32_e64 v5, 0, 1, vcc
	v_add_u32_e32 v7, 0xfffffc10, v7
	v_cvt_f32_f16_e32 v10, v10
	v_or_b32_e32 v5, v13, v5
	v_lshl_or_b32 v12, v7, 12, v0
	v_cmp_gt_i32_e32 vcc, 1, v7
	v_cndmask_b32_e32 v5, v12, v5, vcc
	v_and_b32_e32 v12, 7, v5
	v_cmp_lt_i32_e32 vcc, 5, v12
	v_cmp_eq_u32_e64 s[2:3], 3, v12
	v_cvt_f64_f32_e32 v[12:13], v10
	v_lshrrev_b32_e32 v5, 2, v5
	s_or_b64 vcc, s[2:3], vcc
	v_addc_co_u32_e32 v5, vcc, 0, v5, vcc
	v_mul_f64 v[12:13], v[12:13], s[12:13]
	v_cmp_gt_i32_e32 vcc, 31, v7
	v_cndmask_b32_e32 v5, v2, v5, vcc
	v_cmp_ne_u32_e32 vcc, 0, v0
	v_cndmask_b32_e64 v0, 0, 1, vcc
	v_lshl_or_b32 v0, v0, 9, v2
	v_cmp_eq_u32_e32 vcc, s14, v7
	v_cndmask_b32_e32 v0, v5, v0, vcc
	v_lshrrev_b32_e32 v5, 16, v6
	v_and_or_b32 v0, v5, s15, v0
	v_and_or_b32 v5, v13, s10, v12
	v_cmp_ne_u32_e32 vcc, 0, v5
	v_cndmask_b32_e64 v5, 0, 1, vcc
	v_lshrrev_b32_e32 v6, 8, v13
	v_and_or_b32 v7, v6, s11, v5
	v_bfe_u32 v6, v13, 20, 11
	v_sub_u32_e32 v10, 0x3f1, v6
	v_or_b32_e32 v5, 0x1000, v7
	v_med3_i32 v10, v10, 0, 13
	v_lshrrev_b32_e32 v12, v10, v5
	v_lshlrev_b32_e32 v10, v10, v12
	v_cmp_ne_u32_e32 vcc, v10, v5
	v_cndmask_b32_e64 v5, 0, 1, vcc
	v_add_u32_e32 v10, 0xfffffc10, v6
	v_or_b32_e32 v5, v12, v5
	v_lshl_or_b32 v6, v10, 12, v7
	v_cmp_gt_i32_e32 vcc, 1, v10
	v_cndmask_b32_e32 v5, v6, v5, vcc
	v_and_b32_e32 v6, 7, v5
	v_lshrrev_b32_e32 v12, 2, v5
	v_add_u32_e32 v5, 0xc00, v48
	v_cmp_lt_i32_e32 vcc, 5, v6
	v_cmp_eq_u32_e64 s[2:3], 3, v6
	ds_read2_b32 v[5:6], v5 offset0:51 offset1:177
	s_or_b64 vcc, s[2:3], vcc
	v_addc_co_u32_e32 v12, vcc, 0, v12, vcc
	v_cmp_gt_i32_e32 vcc, 31, v10
	s_waitcnt lgkmcnt(0)
	v_lshrrev_b32_e32 v17, 16, v5
	v_mul_f16_sdwa v14, v51, v17 dst_sel:DWORD dst_unused:UNUSED_PAD src0_sel:WORD_1 src1_sel:DWORD
	v_fma_f16 v14, v51, v5, v14
	v_cvt_f32_f16_e32 v14, v14
	v_cndmask_b32_e32 v12, v2, v12, vcc
	v_cmp_ne_u32_e32 vcc, 0, v7
	v_cndmask_b32_e64 v7, 0, 1, vcc
	v_cvt_f64_f32_e32 v[14:15], v14
	v_lshl_or_b32 v7, v7, 9, v2
	v_cmp_eq_u32_e32 vcc, s14, v10
	v_cndmask_b32_e32 v7, v12, v7, vcc
	v_lshrrev_b32_e32 v10, 16, v13
	v_mul_f64 v[12:13], v[14:15], s[12:13]
	v_and_or_b32 v7, v10, s15, v7
	v_and_b32_e32 v0, 0xffff, v0
	v_add_co_u32_e32 v3, vcc, s4, v3
	v_lshl_or_b32 v0, v7, 16, v0
	v_addc_co_u32_e32 v4, vcc, v4, v16, vcc
	global_store_dword v[3:4], v0, off
	v_and_or_b32 v0, v13, s10, v12
	v_cmp_ne_u32_e32 vcc, 0, v0
	v_cndmask_b32_e64 v0, 0, 1, vcc
	v_lshrrev_b32_e32 v7, 8, v13
	v_bfe_u32 v10, v13, 20, 11
	v_and_or_b32 v0, v7, s11, v0
	v_sub_u32_e32 v12, 0x3f1, v10
	v_mul_f16_sdwa v5, v51, v5 dst_sel:DWORD dst_unused:UNUSED_PAD src0_sel:WORD_1 src1_sel:DWORD
	v_or_b32_e32 v7, 0x1000, v0
	v_med3_i32 v12, v12, 0, 13
	v_fma_f16 v5, v51, v17, -v5
	v_lshrrev_b32_e32 v14, v12, v7
	v_cvt_f32_f16_e32 v5, v5
	v_lshlrev_b32_e32 v12, v12, v14
	v_cmp_ne_u32_e32 vcc, v12, v7
	v_cndmask_b32_e64 v7, 0, 1, vcc
	v_or_b32_e32 v7, v14, v7
	v_add_u32_e32 v10, 0xfffffc10, v10
	v_cvt_f64_f32_e32 v[14:15], v5
	v_lshl_or_b32 v12, v10, 12, v0
	v_cmp_gt_i32_e32 vcc, 1, v10
	v_cndmask_b32_e32 v7, v12, v7, vcc
	v_and_b32_e32 v12, 7, v7
	v_cmp_lt_i32_e32 vcc, 5, v12
	v_cmp_eq_u32_e64 s[2:3], 3, v12
	v_mul_f64 v[14:15], v[14:15], s[12:13]
	v_lshrrev_b32_e32 v7, 2, v7
	s_or_b64 vcc, s[2:3], vcc
	v_addc_co_u32_e32 v5, vcc, 0, v7, vcc
	v_cmp_gt_i32_e32 vcc, 31, v10
	v_cndmask_b32_e32 v5, v2, v5, vcc
	v_cmp_ne_u32_e32 vcc, 0, v0
	v_cndmask_b32_e64 v0, 0, 1, vcc
	v_lshl_or_b32 v0, v0, 9, v2
	v_cmp_eq_u32_e32 vcc, s14, v10
	v_cndmask_b32_e32 v0, v5, v0, vcc
	v_lshrrev_b32_e32 v5, 16, v13
	v_and_or_b32 v0, v5, s15, v0
	v_and_or_b32 v5, v15, s10, v14
	v_cmp_ne_u32_e32 vcc, 0, v5
	v_cndmask_b32_e64 v5, 0, 1, vcc
	v_lshrrev_b32_e32 v7, 8, v15
	v_bfe_u32 v10, v15, 20, 11
	v_and_or_b32 v5, v7, s11, v5
	v_sub_u32_e32 v12, 0x3f1, v10
	v_or_b32_e32 v7, 0x1000, v5
	v_med3_i32 v12, v12, 0, 13
	v_lshrrev_b32_e32 v13, v12, v7
	v_lshlrev_b32_e32 v12, v12, v13
	v_cmp_ne_u32_e32 vcc, v12, v7
	v_cndmask_b32_e64 v7, 0, 1, vcc
	v_add_u32_e32 v10, 0xfffffc10, v10
	v_or_b32_e32 v7, v13, v7
	v_lshl_or_b32 v12, v10, 12, v5
	v_cmp_gt_i32_e32 vcc, 1, v10
	v_cndmask_b32_e32 v7, v12, v7, vcc
	v_and_b32_e32 v12, 7, v7
	v_lshrrev_b32_e32 v14, 16, v11
	v_cmp_lt_i32_e32 vcc, 5, v12
	v_cmp_eq_u32_e64 s[2:3], 3, v12
	v_mul_f16_sdwa v12, v50, v14 dst_sel:DWORD dst_unused:UNUSED_PAD src0_sel:WORD_1 src1_sel:DWORD
	v_fma_f16 v12, v50, v11, v12
	v_cvt_f32_f16_e32 v12, v12
	v_lshrrev_b32_e32 v7, 2, v7
	s_or_b64 vcc, s[2:3], vcc
	v_addc_co_u32_e32 v7, vcc, 0, v7, vcc
	v_cvt_f64_f32_e32 v[12:13], v12
	v_cmp_gt_i32_e32 vcc, 31, v10
	v_cndmask_b32_e32 v7, v2, v7, vcc
	v_cmp_ne_u32_e32 vcc, 0, v5
	v_mul_f64 v[12:13], v[12:13], s[12:13]
	v_cndmask_b32_e64 v5, 0, 1, vcc
	v_lshl_or_b32 v5, v5, 9, v2
	v_cmp_eq_u32_e32 vcc, s14, v10
	v_cndmask_b32_e32 v5, v7, v5, vcc
	v_lshrrev_b32_e32 v7, 16, v15
	v_and_or_b32 v5, v7, s15, v5
	v_and_b32_e32 v0, 0xffff, v0
	v_add_co_u32_e32 v3, vcc, s6, v3
	v_lshl_or_b32 v0, v5, 16, v0
	v_addc_co_u32_e32 v4, vcc, v4, v1, vcc
	global_store_dword v[3:4], v0, off
	v_and_or_b32 v0, v13, s10, v12
	v_cmp_ne_u32_e32 vcc, 0, v0
	v_cndmask_b32_e64 v0, 0, 1, vcc
	v_lshrrev_b32_e32 v5, 8, v13
	v_bfe_u32 v7, v13, 20, 11
	v_and_or_b32 v0, v5, s11, v0
	v_sub_u32_e32 v10, 0x3f1, v7
	v_or_b32_e32 v5, 0x1000, v0
	v_med3_i32 v10, v10, 0, 13
	v_lshrrev_b32_e32 v12, v10, v5
	v_lshlrev_b32_e32 v10, v10, v12
	v_mul_f16_sdwa v11, v50, v11 dst_sel:DWORD dst_unused:UNUSED_PAD src0_sel:WORD_1 src1_sel:DWORD
	v_cmp_ne_u32_e32 vcc, v10, v5
	v_fma_f16 v11, v50, v14, -v11
	v_cndmask_b32_e64 v5, 0, 1, vcc
	v_add_u32_e32 v7, 0xfffffc10, v7
	v_cvt_f32_f16_e32 v11, v11
	v_or_b32_e32 v5, v12, v5
	v_lshl_or_b32 v10, v7, 12, v0
	v_cmp_gt_i32_e32 vcc, 1, v7
	v_cndmask_b32_e32 v5, v10, v5, vcc
	v_and_b32_e32 v10, 7, v5
	v_cmp_lt_i32_e32 vcc, 5, v10
	v_cmp_eq_u32_e64 s[2:3], 3, v10
	v_cvt_f64_f32_e32 v[10:11], v11
	v_lshrrev_b32_e32 v5, 2, v5
	s_or_b64 vcc, s[2:3], vcc
	v_addc_co_u32_e32 v5, vcc, 0, v5, vcc
	v_mul_f64 v[10:11], v[10:11], s[12:13]
	v_cmp_gt_i32_e32 vcc, 31, v7
	v_cndmask_b32_e32 v5, v2, v5, vcc
	v_cmp_ne_u32_e32 vcc, 0, v0
	v_cndmask_b32_e64 v0, 0, 1, vcc
	v_lshl_or_b32 v0, v0, 9, v2
	v_cmp_eq_u32_e32 vcc, s14, v7
	v_cndmask_b32_e32 v0, v5, v0, vcc
	v_lshrrev_b32_e32 v5, 16, v13
	v_and_or_b32 v0, v5, s15, v0
	v_and_or_b32 v5, v11, s10, v10
	v_cmp_ne_u32_e32 vcc, 0, v5
	v_cndmask_b32_e64 v5, 0, 1, vcc
	v_lshrrev_b32_e32 v7, 8, v11
	v_bfe_u32 v10, v11, 20, 11
	v_and_or_b32 v5, v7, s11, v5
	v_sub_u32_e32 v12, 0x3f1, v10
	v_or_b32_e32 v7, 0x1000, v5
	v_med3_i32 v12, v12, 0, 13
	v_lshrrev_b32_e32 v13, v12, v7
	v_lshlrev_b32_e32 v12, v12, v13
	v_cmp_ne_u32_e32 vcc, v12, v7
	v_cndmask_b32_e64 v7, 0, 1, vcc
	v_add_u32_e32 v10, 0xfffffc10, v10
	v_or_b32_e32 v7, v13, v7
	v_lshl_or_b32 v12, v10, 12, v5
	v_cmp_gt_i32_e32 vcc, 1, v10
	v_cndmask_b32_e32 v7, v12, v7, vcc
	v_and_b32_e32 v12, 7, v7
	v_lshrrev_b32_e32 v14, 16, v6
	v_cmp_lt_i32_e32 vcc, 5, v12
	v_cmp_eq_u32_e64 s[2:3], 3, v12
	v_mul_f16_sdwa v12, v49, v14 dst_sel:DWORD dst_unused:UNUSED_PAD src0_sel:WORD_1 src1_sel:DWORD
	v_fma_f16 v12, v49, v6, v12
	v_cvt_f32_f16_e32 v12, v12
	v_lshrrev_b32_e32 v7, 2, v7
	s_or_b64 vcc, s[2:3], vcc
	v_addc_co_u32_e32 v7, vcc, 0, v7, vcc
	v_cmp_gt_i32_e32 vcc, 31, v10
	v_cvt_f64_f32_e32 v[12:13], v12
	v_cndmask_b32_e32 v7, v2, v7, vcc
	v_cmp_ne_u32_e32 vcc, 0, v5
	v_cndmask_b32_e64 v5, 0, 1, vcc
	v_lshl_or_b32 v5, v5, 9, v2
	v_cmp_eq_u32_e32 vcc, s14, v10
	v_cndmask_b32_e32 v5, v7, v5, vcc
	v_lshrrev_b32_e32 v7, 16, v11
	v_mul_f64 v[10:11], v[12:13], s[12:13]
	v_and_or_b32 v5, v7, s15, v5
	v_and_b32_e32 v0, 0xffff, v0
	v_add_co_u32_e32 v3, vcc, s4, v3
	v_lshl_or_b32 v0, v5, 16, v0
	v_addc_co_u32_e32 v4, vcc, v4, v16, vcc
	global_store_dword v[3:4], v0, off
	v_and_or_b32 v0, v11, s10, v10
	v_cmp_ne_u32_e32 vcc, 0, v0
	v_cndmask_b32_e64 v0, 0, 1, vcc
	v_lshrrev_b32_e32 v5, 8, v11
	v_bfe_u32 v7, v11, 20, 11
	v_and_or_b32 v0, v5, s11, v0
	v_sub_u32_e32 v10, 0x3f1, v7
	v_or_b32_e32 v5, 0x1000, v0
	v_med3_i32 v10, v10, 0, 13
	v_lshrrev_b32_e32 v12, v10, v5
	v_lshlrev_b32_e32 v10, v10, v12
	v_mul_f16_sdwa v6, v49, v6 dst_sel:DWORD dst_unused:UNUSED_PAD src0_sel:WORD_1 src1_sel:DWORD
	v_cmp_ne_u32_e32 vcc, v10, v5
	v_fma_f16 v6, v49, v14, -v6
	v_cndmask_b32_e64 v5, 0, 1, vcc
	v_add_u32_e32 v7, 0xfffffc10, v7
	v_cvt_f32_f16_e32 v6, v6
	v_or_b32_e32 v5, v12, v5
	v_lshl_or_b32 v10, v7, 12, v0
	v_cmp_gt_i32_e32 vcc, 1, v7
	v_cndmask_b32_e32 v5, v10, v5, vcc
	v_and_b32_e32 v10, 7, v5
	v_cmp_lt_i32_e32 vcc, 5, v10
	v_cmp_eq_u32_e64 s[2:3], 3, v10
	v_lshrrev_b32_e32 v10, 2, v5
	v_cvt_f64_f32_e32 v[5:6], v6
	s_or_b64 vcc, s[2:3], vcc
	v_addc_co_u32_e32 v10, vcc, 0, v10, vcc
	v_mul_f64 v[5:6], v[5:6], s[12:13]
	v_cmp_gt_i32_e32 vcc, 31, v7
	v_cndmask_b32_e32 v10, v2, v10, vcc
	v_cmp_ne_u32_e32 vcc, 0, v0
	v_cndmask_b32_e64 v0, 0, 1, vcc
	v_lshl_or_b32 v0, v0, 9, v2
	v_cmp_eq_u32_e32 vcc, s14, v7
	v_cndmask_b32_e32 v0, v10, v0, vcc
	v_and_or_b32 v5, v6, s10, v5
	v_lshrrev_b32_e32 v7, 16, v11
	v_cmp_ne_u32_e32 vcc, 0, v5
	v_and_or_b32 v0, v7, s15, v0
	v_cndmask_b32_e64 v5, 0, 1, vcc
	v_lshrrev_b32_e32 v7, 8, v6
	v_bfe_u32 v10, v6, 20, 11
	v_and_or_b32 v5, v7, s11, v5
	v_sub_u32_e32 v11, 0x3f1, v10
	v_or_b32_e32 v7, 0x1000, v5
	v_med3_i32 v11, v11, 0, 13
	v_lshrrev_b32_e32 v12, v11, v7
	v_lshlrev_b32_e32 v11, v11, v12
	v_cmp_ne_u32_e32 vcc, v11, v7
	v_cndmask_b32_e64 v7, 0, 1, vcc
	v_add_u32_e32 v10, 0xfffffc10, v10
	v_or_b32_e32 v7, v12, v7
	v_lshl_or_b32 v11, v10, 12, v5
	v_cmp_gt_i32_e32 vcc, 1, v10
	v_cndmask_b32_e32 v7, v11, v7, vcc
	v_and_b32_e32 v11, 7, v7
	v_cmp_lt_i32_e32 vcc, 5, v11
	v_cmp_eq_u32_e64 s[2:3], 3, v11
	v_lshrrev_b32_e32 v7, 2, v7
	s_or_b64 vcc, s[2:3], vcc
	v_addc_co_u32_e32 v7, vcc, 0, v7, vcc
	v_cmp_gt_i32_e32 vcc, 31, v10
	v_cndmask_b32_e32 v7, v2, v7, vcc
	v_cmp_ne_u32_e32 vcc, 0, v5
	v_cndmask_b32_e64 v5, 0, 1, vcc
	v_lshl_or_b32 v5, v5, 9, v2
	v_cmp_eq_u32_e32 vcc, s14, v10
	v_cndmask_b32_e32 v5, v7, v5, vcc
	v_lshrrev_b32_e32 v6, 16, v6
	v_and_or_b32 v5, v6, s15, v5
	v_and_b32_e32 v0, 0xffff, v0
	v_lshl_or_b32 v5, v5, 16, v0
	v_add_co_u32_e32 v0, vcc, s6, v3
	v_addc_co_u32_e32 v1, vcc, v4, v1, vcc
	global_store_dword v[0:1], v5, off
	s_and_b64 exec, exec, s[0:1]
	s_cbranch_execz .LBB0_23
; %bb.22:
	global_load_dword v5, v[8:9], off offset:2016
	v_add_co_u32_e32 v3, vcc, s16, v8
	v_addc_co_u32_e32 v4, vcc, 0, v9, vcc
	global_load_dword v9, v[3:4], off offset:188
	ds_read_b32 v3, v48 offset:2016
	ds_read_b32 v10, v48 offset:4284
	v_mov_b32_e32 v12, s5
	v_add_co_u32_e32 v0, vcc, s4, v0
	s_waitcnt lgkmcnt(1)
	v_lshrrev_b32_e32 v4, 16, v3
	s_waitcnt lgkmcnt(0)
	v_lshrrev_b32_e32 v11, 16, v10
	v_addc_co_u32_e32 v1, vcc, v1, v12, vcc
	s_waitcnt vmcnt(1)
	v_mul_f16_sdwa v6, v4, v5 dst_sel:DWORD dst_unused:UNUSED_PAD src0_sel:DWORD src1_sel:WORD_1
	v_mul_f16_sdwa v7, v3, v5 dst_sel:DWORD dst_unused:UNUSED_PAD src0_sel:DWORD src1_sel:WORD_1
	v_fma_f16 v3, v3, v5, v6
	v_fma_f16 v4, v5, v4, -v7
	v_cvt_f32_f16_e32 v3, v3
	s_waitcnt vmcnt(0)
	v_mul_f16_sdwa v5, v11, v9 dst_sel:DWORD dst_unused:UNUSED_PAD src0_sel:DWORD src1_sel:WORD_1
	v_cvt_f32_f16_e32 v6, v4
	v_fma_f16 v5, v10, v9, v5
	v_cvt_f32_f16_e32 v7, v5
	v_cvt_f64_f32_e32 v[3:4], v3
	v_cvt_f64_f32_e32 v[5:6], v6
	;; [unrolled: 1-line block ×3, first 2 shown]
	v_mul_f64 v[3:4], v[3:4], s[12:13]
	v_mul_f64 v[5:6], v[5:6], s[12:13]
	;; [unrolled: 1-line block ×3, first 2 shown]
	v_and_or_b32 v3, v4, s10, v3
	v_and_or_b32 v5, v6, s10, v5
	v_cmp_ne_u32_e32 vcc, 0, v3
	v_lshrrev_b32_e32 v12, 8, v4
	v_bfe_u32 v13, v4, 20, 11
	v_bfe_u32 v15, v6, 20, 11
	v_cndmask_b32_e64 v3, 0, 1, vcc
	v_cmp_ne_u32_e32 vcc, 0, v5
	v_and_or_b32 v7, v8, s10, v7
	v_lshrrev_b32_e32 v14, 8, v6
	v_sub_u32_e32 v16, 0x3f1, v13
	v_cndmask_b32_e64 v5, 0, 1, vcc
	v_sub_u32_e32 v17, 0x3f1, v15
	v_bfe_u32 v19, v8, 20, 11
	v_and_or_b32 v3, v12, s11, v3
	v_cmp_ne_u32_e32 vcc, 0, v7
	v_lshrrev_b32_e32 v18, 8, v8
	v_med3_i32 v12, v16, 0, 13
	v_and_or_b32 v5, v14, s11, v5
	v_med3_i32 v14, v17, 0, 13
	v_cndmask_b32_e64 v7, 0, 1, vcc
	v_sub_u32_e32 v16, 0x3f1, v19
	v_add_u32_e32 v17, 0xfffffc10, v19
	v_or_b32_e32 v19, 0x1000, v3
	v_add_u32_e32 v13, 0xfffffc10, v13
	v_cmp_ne_u32_e32 vcc, 0, v3
	v_or_b32_e32 v21, 0x1000, v5
	v_and_or_b32 v7, v18, s11, v7
	v_lshrrev_b32_e32 v18, v12, v19
	v_add_u32_e32 v15, 0xfffffc10, v15
	v_lshl_or_b32 v20, v13, 12, v3
	v_cndmask_b32_e64 v3, 0, 1, vcc
	v_cmp_ne_u32_e32 vcc, 0, v5
	v_med3_i32 v16, v16, 0, 13
	v_lshrrev_b32_e32 v23, v14, v21
	v_or_b32_e32 v24, 0x1000, v7
	v_lshlrev_b32_e32 v12, v12, v18
	v_lshl_or_b32 v22, v15, 12, v5
	v_cndmask_b32_e64 v5, 0, 1, vcc
	v_lshlrev_b32_e32 v14, v14, v23
	v_lshrrev_b32_e32 v25, v16, v24
	v_cmp_ne_u32_e32 vcc, v12, v19
	v_cndmask_b32_e64 v12, 0, 1, vcc
	v_cmp_ne_u32_e32 vcc, v14, v21
	v_lshlrev_b32_e32 v16, v16, v25
	v_cndmask_b32_e64 v14, 0, 1, vcc
	v_cmp_ne_u32_e32 vcc, v16, v24
	v_or_b32_e32 v12, v18, v12
	v_cndmask_b32_e64 v16, 0, 1, vcc
	v_cmp_gt_i32_e32 vcc, 1, v13
	v_cndmask_b32_e32 v12, v20, v12, vcc
	v_or_b32_e32 v14, v23, v14
	v_cmp_gt_i32_e32 vcc, 1, v15
	v_and_b32_e32 v18, 7, v12
	v_cndmask_b32_e32 v14, v22, v14, vcc
	v_cmp_lt_i32_e32 vcc, 5, v18
	v_cmp_eq_u32_e64 s[0:1], 3, v18
	v_lshrrev_b32_e32 v12, 2, v12
	v_and_b32_e32 v19, 7, v14
	s_or_b64 vcc, s[0:1], vcc
	v_cmp_lt_i32_e64 s[2:3], 5, v19
	v_cmp_eq_u32_e64 s[4:5], 3, v19
	v_addc_co_u32_e32 v12, vcc, 0, v12, vcc
	v_lshrrev_b32_e32 v14, 2, v14
	s_or_b64 vcc, s[4:5], s[2:3]
	v_addc_co_u32_e32 v14, vcc, 0, v14, vcc
	v_cmp_gt_i32_e32 vcc, 31, v13
	v_cndmask_b32_e32 v12, v2, v12, vcc
	v_cmp_gt_i32_e32 vcc, 31, v15
	v_lshl_or_b32 v3, v3, 9, v2
	v_cndmask_b32_e32 v14, v2, v14, vcc
	v_cmp_eq_u32_e32 vcc, s14, v13
	v_lshl_or_b32 v5, v5, 9, v2
	v_cndmask_b32_e32 v3, v12, v3, vcc
	v_cmp_eq_u32_e32 vcc, s14, v15
	v_lshrrev_b32_e32 v4, 16, v4
	v_lshrrev_b32_e32 v6, 16, v6
	v_cndmask_b32_e32 v5, v14, v5, vcc
	v_and_or_b32 v3, v4, s15, v3
	v_and_or_b32 v4, v6, s15, v5
	v_mul_f16_sdwa v5, v10, v9 dst_sel:DWORD dst_unused:UNUSED_PAD src0_sel:DWORD src1_sel:WORD_1
	v_and_b32_e32 v3, 0xffff, v3
	v_fma_f16 v5, v9, v11, -v5
	v_lshl_or_b32 v3, v4, 16, v3
	v_cvt_f32_f16_e32 v5, v5
	v_or_b32_e32 v16, v25, v16
	global_store_dword v[0:1], v3, off
	v_lshl_or_b32 v3, v17, 12, v7
	v_cmp_gt_i32_e32 vcc, 1, v17
	v_cndmask_b32_e32 v3, v3, v16, vcc
	v_and_b32_e32 v4, 7, v3
	v_cmp_lt_i32_e32 vcc, 5, v4
	v_cmp_eq_u32_e64 s[0:1], 3, v4
	v_lshrrev_b32_e32 v6, 2, v3
	v_cvt_f64_f32_e32 v[3:4], v5
	s_or_b64 vcc, s[0:1], vcc
	v_addc_co_u32_e32 v5, vcc, 0, v6, vcc
	v_mul_f64 v[3:4], v[3:4], s[12:13]
	v_cmp_gt_i32_e32 vcc, 31, v17
	v_cndmask_b32_e32 v5, v2, v5, vcc
	v_cmp_ne_u32_e32 vcc, 0, v7
	v_cndmask_b32_e64 v6, 0, 1, vcc
	v_lshl_or_b32 v6, v6, 9, v2
	v_cmp_eq_u32_e32 vcc, s14, v17
	v_cndmask_b32_e32 v5, v5, v6, vcc
	v_and_or_b32 v3, v4, s10, v3
	v_lshrrev_b32_e32 v6, 16, v8
	v_cmp_ne_u32_e32 vcc, 0, v3
	v_and_or_b32 v5, v6, s15, v5
	v_cndmask_b32_e64 v3, 0, 1, vcc
	v_lshrrev_b32_e32 v6, 8, v4
	v_bfe_u32 v7, v4, 20, 11
	v_and_or_b32 v3, v6, s11, v3
	v_sub_u32_e32 v8, 0x3f1, v7
	v_or_b32_e32 v6, 0x1000, v3
	v_med3_i32 v8, v8, 0, 13
	v_lshrrev_b32_e32 v9, v8, v6
	v_lshlrev_b32_e32 v8, v8, v9
	v_cmp_ne_u32_e32 vcc, v8, v6
	v_cndmask_b32_e64 v6, 0, 1, vcc
	v_add_u32_e32 v7, 0xfffffc10, v7
	v_or_b32_e32 v6, v9, v6
	v_lshl_or_b32 v8, v7, 12, v3
	v_cmp_gt_i32_e32 vcc, 1, v7
	v_cndmask_b32_e32 v6, v8, v6, vcc
	v_and_b32_e32 v8, 7, v6
	v_cmp_lt_i32_e32 vcc, 5, v8
	v_cmp_eq_u32_e64 s[0:1], 3, v8
	v_lshrrev_b32_e32 v6, 2, v6
	s_or_b64 vcc, s[0:1], vcc
	v_addc_co_u32_e32 v6, vcc, 0, v6, vcc
	v_cmp_gt_i32_e32 vcc, 31, v7
	v_cndmask_b32_e32 v6, v2, v6, vcc
	v_cmp_ne_u32_e32 vcc, 0, v3
	v_cndmask_b32_e64 v3, 0, 1, vcc
	v_lshl_or_b32 v2, v3, 9, v2
	v_cmp_eq_u32_e32 vcc, s14, v7
	v_cndmask_b32_e32 v2, v6, v2, vcc
	v_lshrrev_b32_e32 v3, 16, v4
	v_and_or_b32 v2, v3, s15, v2
	v_and_b32_e32 v3, 0xffff, v5
	v_lshl_or_b32 v2, v2, 16, v3
	v_mov_b32_e32 v3, s7
	v_add_co_u32_e32 v0, vcc, s6, v0
	v_addc_co_u32_e32 v1, vcc, v1, v3, vcc
	global_store_dword v[0:1], v2, off
.LBB0_23:
	s_endpgm
	.section	.rodata,"a",@progbits
	.p2align	6, 0x0
	.amdhsa_kernel bluestein_single_back_len1134_dim1_half_op_CI_CI
		.amdhsa_group_segment_fixed_size 4536
		.amdhsa_private_segment_fixed_size 0
		.amdhsa_kernarg_size 104
		.amdhsa_user_sgpr_count 6
		.amdhsa_user_sgpr_private_segment_buffer 1
		.amdhsa_user_sgpr_dispatch_ptr 0
		.amdhsa_user_sgpr_queue_ptr 0
		.amdhsa_user_sgpr_kernarg_segment_ptr 1
		.amdhsa_user_sgpr_dispatch_id 0
		.amdhsa_user_sgpr_flat_scratch_init 0
		.amdhsa_user_sgpr_private_segment_size 0
		.amdhsa_uses_dynamic_stack 0
		.amdhsa_system_sgpr_private_segment_wavefront_offset 0
		.amdhsa_system_sgpr_workgroup_id_x 1
		.amdhsa_system_sgpr_workgroup_id_y 0
		.amdhsa_system_sgpr_workgroup_id_z 0
		.amdhsa_system_sgpr_workgroup_info 0
		.amdhsa_system_vgpr_workitem_id 0
		.amdhsa_next_free_vgpr 115
		.amdhsa_next_free_sgpr 21
		.amdhsa_reserve_vcc 1
		.amdhsa_reserve_flat_scratch 0
		.amdhsa_float_round_mode_32 0
		.amdhsa_float_round_mode_16_64 0
		.amdhsa_float_denorm_mode_32 3
		.amdhsa_float_denorm_mode_16_64 3
		.amdhsa_dx10_clamp 1
		.amdhsa_ieee_mode 1
		.amdhsa_fp16_overflow 0
		.amdhsa_exception_fp_ieee_invalid_op 0
		.amdhsa_exception_fp_denorm_src 0
		.amdhsa_exception_fp_ieee_div_zero 0
		.amdhsa_exception_fp_ieee_overflow 0
		.amdhsa_exception_fp_ieee_underflow 0
		.amdhsa_exception_fp_ieee_inexact 0
		.amdhsa_exception_int_div_zero 0
	.end_amdhsa_kernel
	.text
.Lfunc_end0:
	.size	bluestein_single_back_len1134_dim1_half_op_CI_CI, .Lfunc_end0-bluestein_single_back_len1134_dim1_half_op_CI_CI
                                        ; -- End function
	.section	.AMDGPU.csdata,"",@progbits
; Kernel info:
; codeLenInByte = 17032
; NumSgprs: 25
; NumVgprs: 115
; ScratchSize: 0
; MemoryBound: 0
; FloatMode: 240
; IeeeMode: 1
; LDSByteSize: 4536 bytes/workgroup (compile time only)
; SGPRBlocks: 3
; VGPRBlocks: 28
; NumSGPRsForWavesPerEU: 25
; NumVGPRsForWavesPerEU: 115
; Occupancy: 2
; WaveLimiterHint : 1
; COMPUTE_PGM_RSRC2:SCRATCH_EN: 0
; COMPUTE_PGM_RSRC2:USER_SGPR: 6
; COMPUTE_PGM_RSRC2:TRAP_HANDLER: 0
; COMPUTE_PGM_RSRC2:TGID_X_EN: 1
; COMPUTE_PGM_RSRC2:TGID_Y_EN: 0
; COMPUTE_PGM_RSRC2:TGID_Z_EN: 0
; COMPUTE_PGM_RSRC2:TIDIG_COMP_CNT: 0
	.type	__hip_cuid_e9ffa3b8ac1cdbcb,@object ; @__hip_cuid_e9ffa3b8ac1cdbcb
	.section	.bss,"aw",@nobits
	.globl	__hip_cuid_e9ffa3b8ac1cdbcb
__hip_cuid_e9ffa3b8ac1cdbcb:
	.byte	0                               ; 0x0
	.size	__hip_cuid_e9ffa3b8ac1cdbcb, 1

	.ident	"AMD clang version 19.0.0git (https://github.com/RadeonOpenCompute/llvm-project roc-6.4.0 25133 c7fe45cf4b819c5991fe208aaa96edf142730f1d)"
	.section	".note.GNU-stack","",@progbits
	.addrsig
	.addrsig_sym __hip_cuid_e9ffa3b8ac1cdbcb
	.amdgpu_metadata
---
amdhsa.kernels:
  - .args:
      - .actual_access:  read_only
        .address_space:  global
        .offset:         0
        .size:           8
        .value_kind:     global_buffer
      - .actual_access:  read_only
        .address_space:  global
        .offset:         8
        .size:           8
        .value_kind:     global_buffer
      - .actual_access:  read_only
        .address_space:  global
        .offset:         16
        .size:           8
        .value_kind:     global_buffer
      - .actual_access:  read_only
        .address_space:  global
        .offset:         24
        .size:           8
        .value_kind:     global_buffer
      - .actual_access:  read_only
        .address_space:  global
        .offset:         32
        .size:           8
        .value_kind:     global_buffer
      - .offset:         40
        .size:           8
        .value_kind:     by_value
      - .address_space:  global
        .offset:         48
        .size:           8
        .value_kind:     global_buffer
      - .address_space:  global
        .offset:         56
        .size:           8
        .value_kind:     global_buffer
      - .address_space:  global
        .offset:         64
        .size:           8
        .value_kind:     global_buffer
      - .address_space:  global
        .offset:         72
        .size:           8
        .value_kind:     global_buffer
      - .offset:         80
        .size:           4
        .value_kind:     by_value
      - .address_space:  global
        .offset:         88
        .size:           8
        .value_kind:     global_buffer
      - .address_space:  global
        .offset:         96
        .size:           8
        .value_kind:     global_buffer
    .group_segment_fixed_size: 4536
    .kernarg_segment_align: 8
    .kernarg_segment_size: 104
    .language:       OpenCL C
    .language_version:
      - 2
      - 0
    .max_flat_workgroup_size: 126
    .name:           bluestein_single_back_len1134_dim1_half_op_CI_CI
    .private_segment_fixed_size: 0
    .sgpr_count:     25
    .sgpr_spill_count: 0
    .symbol:         bluestein_single_back_len1134_dim1_half_op_CI_CI.kd
    .uniform_work_group_size: 1
    .uses_dynamic_stack: false
    .vgpr_count:     115
    .vgpr_spill_count: 0
    .wavefront_size: 64
amdhsa.target:   amdgcn-amd-amdhsa--gfx906
amdhsa.version:
  - 1
  - 2
...

	.end_amdgpu_metadata
